;; amdgpu-corpus repo=ROCm/rocFFT kind=compiled arch=gfx906 opt=O3
	.text
	.amdgcn_target "amdgcn-amd-amdhsa--gfx906"
	.amdhsa_code_object_version 6
	.protected	fft_rtc_back_len612_factors_17_3_6_2_wgs_51_tpt_51_halfLds_dp_op_CI_CI_unitstride_sbrr_C2R_dirReg ; -- Begin function fft_rtc_back_len612_factors_17_3_6_2_wgs_51_tpt_51_halfLds_dp_op_CI_CI_unitstride_sbrr_C2R_dirReg
	.globl	fft_rtc_back_len612_factors_17_3_6_2_wgs_51_tpt_51_halfLds_dp_op_CI_CI_unitstride_sbrr_C2R_dirReg
	.p2align	8
	.type	fft_rtc_back_len612_factors_17_3_6_2_wgs_51_tpt_51_halfLds_dp_op_CI_CI_unitstride_sbrr_C2R_dirReg,@function
fft_rtc_back_len612_factors_17_3_6_2_wgs_51_tpt_51_halfLds_dp_op_CI_CI_unitstride_sbrr_C2R_dirReg: ; @fft_rtc_back_len612_factors_17_3_6_2_wgs_51_tpt_51_halfLds_dp_op_CI_CI_unitstride_sbrr_C2R_dirReg
; %bb.0:
	s_load_dwordx4 s[8:11], s[4:5], 0x58
	s_load_dwordx4 s[12:15], s[4:5], 0x0
	;; [unrolled: 1-line block ×3, first 2 shown]
	v_mul_u32_u24_e32 v1, 0x506, v0
	v_add_u32_sdwa v5, s6, v1 dst_sel:DWORD dst_unused:UNUSED_PAD src0_sel:DWORD src1_sel:WORD_1
	v_mov_b32_e32 v3, 0
	s_waitcnt lgkmcnt(0)
	v_cmp_lt_u64_e64 s[0:1], s[14:15], 2
	v_mov_b32_e32 v1, 0
	v_mov_b32_e32 v6, v3
	s_and_b64 vcc, exec, s[0:1]
	v_mov_b32_e32 v2, 0
	s_cbranch_vccnz .LBB0_8
; %bb.1:
	s_load_dwordx2 s[0:1], s[4:5], 0x10
	s_add_u32 s2, s18, 8
	s_addc_u32 s3, s19, 0
	s_add_u32 s6, s16, 8
	v_mov_b32_e32 v1, 0
	s_addc_u32 s7, s17, 0
	v_mov_b32_e32 v2, 0
	s_waitcnt lgkmcnt(0)
	s_add_u32 s20, s0, 8
	v_mov_b32_e32 v69, v2
	s_addc_u32 s21, s1, 0
	s_mov_b64 s[22:23], 1
	v_mov_b32_e32 v68, v1
.LBB0_2:                                ; =>This Inner Loop Header: Depth=1
	s_load_dwordx2 s[24:25], s[20:21], 0x0
                                        ; implicit-def: $vgpr72_vgpr73
	s_waitcnt lgkmcnt(0)
	v_or_b32_e32 v4, s25, v6
	v_cmp_ne_u64_e32 vcc, 0, v[3:4]
	s_and_saveexec_b64 s[0:1], vcc
	s_xor_b64 s[26:27], exec, s[0:1]
	s_cbranch_execz .LBB0_4
; %bb.3:                                ;   in Loop: Header=BB0_2 Depth=1
	v_cvt_f32_u32_e32 v4, s24
	v_cvt_f32_u32_e32 v7, s25
	s_sub_u32 s0, 0, s24
	s_subb_u32 s1, 0, s25
	v_mac_f32_e32 v4, 0x4f800000, v7
	v_rcp_f32_e32 v4, v4
	v_mul_f32_e32 v4, 0x5f7ffffc, v4
	v_mul_f32_e32 v7, 0x2f800000, v4
	v_trunc_f32_e32 v7, v7
	v_mac_f32_e32 v4, 0xcf800000, v7
	v_cvt_u32_f32_e32 v7, v7
	v_cvt_u32_f32_e32 v4, v4
	v_mul_lo_u32 v8, s0, v7
	v_mul_hi_u32 v9, s0, v4
	v_mul_lo_u32 v11, s1, v4
	v_mul_lo_u32 v10, s0, v4
	v_add_u32_e32 v8, v9, v8
	v_add_u32_e32 v8, v8, v11
	v_mul_hi_u32 v9, v4, v10
	v_mul_lo_u32 v11, v4, v8
	v_mul_hi_u32 v13, v4, v8
	v_mul_hi_u32 v12, v7, v10
	v_mul_lo_u32 v10, v7, v10
	v_mul_hi_u32 v14, v7, v8
	v_add_co_u32_e32 v9, vcc, v9, v11
	v_addc_co_u32_e32 v11, vcc, 0, v13, vcc
	v_mul_lo_u32 v8, v7, v8
	v_add_co_u32_e32 v9, vcc, v9, v10
	v_addc_co_u32_e32 v9, vcc, v11, v12, vcc
	v_addc_co_u32_e32 v10, vcc, 0, v14, vcc
	v_add_co_u32_e32 v8, vcc, v9, v8
	v_addc_co_u32_e32 v9, vcc, 0, v10, vcc
	v_add_co_u32_e32 v4, vcc, v4, v8
	v_addc_co_u32_e32 v7, vcc, v7, v9, vcc
	v_mul_lo_u32 v8, s0, v7
	v_mul_hi_u32 v9, s0, v4
	v_mul_lo_u32 v10, s1, v4
	v_mul_lo_u32 v11, s0, v4
	v_add_u32_e32 v8, v9, v8
	v_add_u32_e32 v8, v8, v10
	v_mul_lo_u32 v12, v4, v8
	v_mul_hi_u32 v13, v4, v11
	v_mul_hi_u32 v14, v4, v8
	v_mul_hi_u32 v10, v7, v11
	v_mul_lo_u32 v11, v7, v11
	v_mul_hi_u32 v9, v7, v8
	v_add_co_u32_e32 v12, vcc, v13, v12
	v_addc_co_u32_e32 v13, vcc, 0, v14, vcc
	v_mul_lo_u32 v8, v7, v8
	v_add_co_u32_e32 v11, vcc, v12, v11
	v_addc_co_u32_e32 v10, vcc, v13, v10, vcc
	v_addc_co_u32_e32 v9, vcc, 0, v9, vcc
	v_add_co_u32_e32 v8, vcc, v10, v8
	v_addc_co_u32_e32 v9, vcc, 0, v9, vcc
	v_add_co_u32_e32 v4, vcc, v4, v8
	v_addc_co_u32_e32 v9, vcc, v7, v9, vcc
	v_mad_u64_u32 v[7:8], s[0:1], v5, v9, 0
	v_mul_hi_u32 v10, v5, v4
	v_add_co_u32_e32 v11, vcc, v10, v7
	v_addc_co_u32_e32 v12, vcc, 0, v8, vcc
	v_mad_u64_u32 v[7:8], s[0:1], v6, v4, 0
	v_mad_u64_u32 v[9:10], s[0:1], v6, v9, 0
	v_add_co_u32_e32 v4, vcc, v11, v7
	v_addc_co_u32_e32 v4, vcc, v12, v8, vcc
	v_addc_co_u32_e32 v7, vcc, 0, v10, vcc
	v_add_co_u32_e32 v4, vcc, v4, v9
	v_addc_co_u32_e32 v9, vcc, 0, v7, vcc
	v_mul_lo_u32 v10, s25, v4
	v_mul_lo_u32 v11, s24, v9
	v_mad_u64_u32 v[7:8], s[0:1], s24, v4, 0
	v_add3_u32 v8, v8, v11, v10
	v_sub_u32_e32 v10, v6, v8
	v_mov_b32_e32 v11, s25
	v_sub_co_u32_e32 v7, vcc, v5, v7
	v_subb_co_u32_e64 v10, s[0:1], v10, v11, vcc
	v_subrev_co_u32_e64 v11, s[0:1], s24, v7
	v_subbrev_co_u32_e64 v10, s[0:1], 0, v10, s[0:1]
	v_cmp_le_u32_e64 s[0:1], s25, v10
	v_cndmask_b32_e64 v12, 0, -1, s[0:1]
	v_cmp_le_u32_e64 s[0:1], s24, v11
	v_cndmask_b32_e64 v11, 0, -1, s[0:1]
	v_cmp_eq_u32_e64 s[0:1], s25, v10
	v_cndmask_b32_e64 v10, v12, v11, s[0:1]
	v_add_co_u32_e64 v11, s[0:1], 2, v4
	v_addc_co_u32_e64 v12, s[0:1], 0, v9, s[0:1]
	v_add_co_u32_e64 v13, s[0:1], 1, v4
	v_addc_co_u32_e64 v14, s[0:1], 0, v9, s[0:1]
	v_subb_co_u32_e32 v8, vcc, v6, v8, vcc
	v_cmp_ne_u32_e64 s[0:1], 0, v10
	v_cmp_le_u32_e32 vcc, s25, v8
	v_cndmask_b32_e64 v10, v14, v12, s[0:1]
	v_cndmask_b32_e64 v12, 0, -1, vcc
	v_cmp_le_u32_e32 vcc, s24, v7
	v_cndmask_b32_e64 v7, 0, -1, vcc
	v_cmp_eq_u32_e32 vcc, s25, v8
	v_cndmask_b32_e32 v7, v12, v7, vcc
	v_cmp_ne_u32_e32 vcc, 0, v7
	v_cndmask_b32_e64 v7, v13, v11, s[0:1]
	v_cndmask_b32_e32 v73, v9, v10, vcc
	v_cndmask_b32_e32 v72, v4, v7, vcc
.LBB0_4:                                ;   in Loop: Header=BB0_2 Depth=1
	s_andn2_saveexec_b64 s[0:1], s[26:27]
	s_cbranch_execz .LBB0_6
; %bb.5:                                ;   in Loop: Header=BB0_2 Depth=1
	v_cvt_f32_u32_e32 v4, s24
	s_sub_i32 s26, 0, s24
	v_mov_b32_e32 v73, v3
	v_rcp_iflag_f32_e32 v4, v4
	v_mul_f32_e32 v4, 0x4f7ffffe, v4
	v_cvt_u32_f32_e32 v4, v4
	v_mul_lo_u32 v7, s26, v4
	v_mul_hi_u32 v7, v4, v7
	v_add_u32_e32 v4, v4, v7
	v_mul_hi_u32 v4, v5, v4
	v_mul_lo_u32 v7, v4, s24
	v_add_u32_e32 v8, 1, v4
	v_sub_u32_e32 v7, v5, v7
	v_subrev_u32_e32 v9, s24, v7
	v_cmp_le_u32_e32 vcc, s24, v7
	v_cndmask_b32_e32 v7, v7, v9, vcc
	v_cndmask_b32_e32 v4, v4, v8, vcc
	v_add_u32_e32 v8, 1, v4
	v_cmp_le_u32_e32 vcc, s24, v7
	v_cndmask_b32_e32 v72, v4, v8, vcc
.LBB0_6:                                ;   in Loop: Header=BB0_2 Depth=1
	s_or_b64 exec, exec, s[0:1]
	v_mul_lo_u32 v4, v73, s24
	v_mul_lo_u32 v9, v72, s25
	v_mad_u64_u32 v[7:8], s[0:1], v72, s24, 0
	s_load_dwordx2 s[0:1], s[6:7], 0x0
	s_load_dwordx2 s[24:25], s[2:3], 0x0
	v_add3_u32 v4, v8, v9, v4
	v_sub_co_u32_e32 v5, vcc, v5, v7
	v_subb_co_u32_e32 v4, vcc, v6, v4, vcc
	s_waitcnt lgkmcnt(0)
	v_mul_lo_u32 v6, s0, v4
	v_mul_lo_u32 v7, s1, v5
	v_mad_u64_u32 v[1:2], s[0:1], s0, v5, v[1:2]
	v_mul_lo_u32 v4, s24, v4
	v_mul_lo_u32 v8, s25, v5
	v_mad_u64_u32 v[68:69], s[0:1], s24, v5, v[68:69]
	s_add_u32 s22, s22, 1
	s_addc_u32 s23, s23, 0
	s_add_u32 s2, s2, 8
	v_add3_u32 v69, v8, v69, v4
	s_addc_u32 s3, s3, 0
	v_mov_b32_e32 v4, s14
	s_add_u32 s6, s6, 8
	v_mov_b32_e32 v5, s15
	s_addc_u32 s7, s7, 0
	v_cmp_ge_u64_e32 vcc, s[22:23], v[4:5]
	s_add_u32 s20, s20, 8
	v_add3_u32 v2, v7, v2, v6
	s_addc_u32 s21, s21, 0
	s_cbranch_vccnz .LBB0_9
; %bb.7:                                ;   in Loop: Header=BB0_2 Depth=1
	v_mov_b32_e32 v5, v72
	v_mov_b32_e32 v6, v73
	s_branch .LBB0_2
.LBB0_8:
	v_mov_b32_e32 v69, v2
	v_mov_b32_e32 v73, v6
	;; [unrolled: 1-line block ×4, first 2 shown]
.LBB0_9:
	s_load_dwordx2 s[4:5], s[4:5], 0x28
	s_lshl_b64 s[6:7], s[14:15], 3
	s_add_u32 s2, s18, s6
	s_addc_u32 s3, s19, s7
                                        ; implicit-def: $vgpr70
                                        ; implicit-def: $vgpr4_vgpr5
	s_waitcnt lgkmcnt(0)
	v_cmp_gt_u64_e64 s[0:1], s[4:5], v[72:73]
	v_cmp_le_u64_e32 vcc, s[4:5], v[72:73]
	s_and_saveexec_b64 s[4:5], vcc
	s_xor_b64 s[4:5], exec, s[4:5]
; %bb.10:
	s_mov_b32 s14, 0x5050506
	v_mul_hi_u32 v1, v0, s14
	v_mov_b32_e32 v71, 0
	v_mul_u32_u24_e32 v1, 51, v1
	v_sub_u32_e32 v70, v0, v1
	v_mov_b32_e32 v4, v70
	v_mov_b32_e32 v5, v71
                                        ; implicit-def: $vgpr0
                                        ; implicit-def: $vgpr1_vgpr2
; %bb.11:
	s_or_saveexec_b64 s[4:5], s[4:5]
	s_load_dwordx2 s[2:3], s[2:3], 0x0
	s_xor_b64 exec, exec, s[4:5]
	s_cbranch_execz .LBB0_15
; %bb.12:
	s_add_u32 s6, s16, s6
	s_addc_u32 s7, s17, s7
	s_load_dwordx2 s[6:7], s[6:7], 0x0
	s_mov_b32 s14, 0x5050506
	v_mul_hi_u32 v5, v0, s14
	v_lshlrev_b64 v[1:2], 4, v[1:2]
	v_mov_b32_e32 v71, 0
	s_waitcnt lgkmcnt(0)
	v_mul_lo_u32 v6, s7, v72
	v_mul_lo_u32 v7, s6, v73
	v_mad_u64_u32 v[3:4], s[6:7], s6, v72, 0
	v_mul_u32_u24_e32 v5, 51, v5
	v_sub_u32_e32 v70, v0, v5
	v_add3_u32 v4, v4, v7, v6
	v_lshlrev_b64 v[3:4], 4, v[3:4]
	v_mov_b32_e32 v0, s9
	v_add_co_u32_e32 v3, vcc, s8, v3
	v_addc_co_u32_e32 v0, vcc, v0, v4, vcc
	v_add_co_u32_e32 v1, vcc, v3, v1
	v_addc_co_u32_e32 v0, vcc, v0, v2, vcc
	v_lshlrev_b32_e32 v56, 4, v70
	v_add_co_u32_e32 v50, vcc, v1, v56
	v_addc_co_u32_e32 v51, vcc, 0, v0, vcc
	s_movk_i32 s6, 0x1000
	v_add_co_u32_e32 v52, vcc, s6, v50
	v_addc_co_u32_e32 v53, vcc, 0, v51, vcc
	v_add_co_u32_e32 v54, vcc, 0x2000, v50
	global_load_dwordx4 v[2:5], v[50:51], off
	global_load_dwordx4 v[6:9], v[50:51], off offset:816
	global_load_dwordx4 v[10:13], v[50:51], off offset:1632
	;; [unrolled: 1-line block ×3, first 2 shown]
	v_addc_co_u32_e32 v55, vcc, 0, v51, vcc
	global_load_dwordx4 v[18:21], v[50:51], off offset:3264
	global_load_dwordx4 v[22:25], v[50:51], off offset:4080
	;; [unrolled: 1-line block ×8, first 2 shown]
	v_add_u32_e32 v50, 0, v56
	v_cmp_eq_u32_e32 vcc, 50, v70
	s_waitcnt vmcnt(11)
	ds_write_b128 v50, v[2:5]
	s_waitcnt vmcnt(10)
	ds_write_b128 v50, v[6:9] offset:816
	s_waitcnt vmcnt(9)
	ds_write_b128 v50, v[10:13] offset:1632
	;; [unrolled: 2-line block ×11, first 2 shown]
	v_mov_b32_e32 v4, v70
	v_mov_b32_e32 v5, v71
	s_and_saveexec_b64 s[6:7], vcc
	s_cbranch_execz .LBB0_14
; %bb.13:
	v_add_co_u32_e32 v1, vcc, 0x2000, v1
	v_addc_co_u32_e32 v2, vcc, 0, v0, vcc
	global_load_dwordx4 v[0:3], v[1:2], off offset:1600
	v_mov_b32_e32 v4, 50
	v_mov_b32_e32 v5, 0
	;; [unrolled: 1-line block ×3, first 2 shown]
	s_waitcnt vmcnt(0)
	ds_write_b128 v71, v[0:3] offset:9792
.LBB0_14:
	s_or_b64 exec, exec, s[6:7]
.LBB0_15:
	s_or_b64 exec, exec, s[4:5]
	v_lshlrev_b32_e32 v0, 4, v70
	v_add_u32_e32 v116, 0, v0
	s_waitcnt lgkmcnt(0)
	; wave barrier
	s_waitcnt lgkmcnt(0)
	v_sub_u32_e32 v10, 0, v0
	ds_read_b64 v[6:7], v116
	ds_read_b64 v[8:9], v10 offset:9792
	s_add_u32 s6, s12, 0x2530
	v_lshlrev_b64 v[74:75], 4, v[4:5]
	s_addc_u32 s7, s13, 0
	v_cmp_ne_u32_e32 vcc, 0, v70
	s_waitcnt lgkmcnt(0)
	v_add_f64 v[0:1], v[6:7], v[8:9]
	v_add_f64 v[2:3], v[6:7], -v[8:9]
	s_and_saveexec_b64 s[4:5], vcc
	s_xor_b64 s[4:5], exec, s[4:5]
	s_cbranch_execz .LBB0_17
; %bb.16:
	v_mov_b32_e32 v1, s7
	v_add_co_u32_e32 v0, vcc, s6, v74
	v_addc_co_u32_e32 v1, vcc, v1, v75, vcc
	global_load_dwordx4 v[2:5], v[0:1], off
	ds_read_b64 v[0:1], v10 offset:9800
	ds_read_b64 v[11:12], v116 offset:8
	v_add_f64 v[13:14], v[6:7], v[8:9]
	v_add_f64 v[8:9], v[6:7], -v[8:9]
	s_waitcnt lgkmcnt(0)
	v_add_f64 v[15:16], v[0:1], v[11:12]
	v_add_f64 v[0:1], v[11:12], -v[0:1]
	s_waitcnt vmcnt(0)
	v_fma_f64 v[6:7], -v[8:9], v[4:5], v[13:14]
	v_fma_f64 v[11:12], v[15:16], v[4:5], -v[0:1]
	v_fma_f64 v[13:14], v[8:9], v[4:5], v[13:14]
	v_fma_f64 v[17:18], v[15:16], v[4:5], v[0:1]
	v_fma_f64 v[4:5], v[15:16], v[2:3], v[6:7]
	v_fma_f64 v[6:7], v[8:9], v[2:3], v[11:12]
	v_fma_f64 v[0:1], -v[15:16], v[2:3], v[13:14]
	v_fma_f64 v[2:3], v[8:9], v[2:3], v[17:18]
	ds_write_b128 v10, v[4:7] offset:9792
.LBB0_17:
	s_andn2_saveexec_b64 s[4:5], s[4:5]
	s_cbranch_execz .LBB0_19
; %bb.18:
	v_mov_b32_e32 v8, 0
	ds_read_b128 v[4:7], v8 offset:4896
	s_waitcnt lgkmcnt(0)
	v_add_f64 v[4:5], v[4:5], v[4:5]
	v_mul_f64 v[6:7], v[6:7], -2.0
	ds_write_b128 v8, v[4:7] offset:4896
.LBB0_19:
	s_or_b64 exec, exec, s[4:5]
	v_mov_b32_e32 v71, 0
	v_lshlrev_b64 v[76:77], 4, v[70:71]
	v_mov_b32_e32 v4, s7
	v_add_co_u32_e32 v23, vcc, s6, v76
	v_addc_co_u32_e32 v24, vcc, v4, v77, vcc
	global_load_dwordx4 v[4:7], v[23:24], off offset:816
	global_load_dwordx4 v[11:14], v[23:24], off offset:1632
	ds_write_b128 v116, v[0:3]
	ds_read_b128 v[0:3], v116 offset:816
	ds_read_b128 v[15:18], v10 offset:8976
	global_load_dwordx4 v[19:22], v[23:24], off offset:2448
	v_cmp_gt_u32_e32 vcc, 36, v70
	s_waitcnt lgkmcnt(0)
	v_add_f64 v[8:9], v[0:1], v[15:16]
	v_add_f64 v[25:26], v[17:18], v[2:3]
	v_add_f64 v[15:16], v[0:1], -v[15:16]
	v_add_f64 v[0:1], v[2:3], -v[17:18]
	s_waitcnt vmcnt(2)
	v_fma_f64 v[2:3], v[15:16], v[6:7], v[8:9]
	v_fma_f64 v[17:18], v[25:26], v[6:7], v[0:1]
	v_fma_f64 v[8:9], -v[15:16], v[6:7], v[8:9]
	v_fma_f64 v[27:28], v[25:26], v[6:7], -v[0:1]
	v_fma_f64 v[0:1], -v[25:26], v[4:5], v[2:3]
	v_fma_f64 v[2:3], v[15:16], v[4:5], v[17:18]
	v_fma_f64 v[6:7], v[25:26], v[4:5], v[8:9]
	;; [unrolled: 1-line block ×3, first 2 shown]
	ds_write_b128 v116, v[0:3] offset:816
	ds_write_b128 v10, v[6:9] offset:8976
	ds_read_b128 v[0:3], v116 offset:1632
	ds_read_b128 v[4:7], v10 offset:8160
	global_load_dwordx4 v[15:18], v[23:24], off offset:3264
	s_waitcnt lgkmcnt(0)
	v_add_f64 v[8:9], v[0:1], v[4:5]
	v_add_f64 v[25:26], v[6:7], v[2:3]
	v_add_f64 v[27:28], v[0:1], -v[4:5]
	v_add_f64 v[0:1], v[2:3], -v[6:7]
	s_waitcnt vmcnt(2)
	v_fma_f64 v[2:3], v[27:28], v[13:14], v[8:9]
	v_fma_f64 v[4:5], v[25:26], v[13:14], v[0:1]
	v_fma_f64 v[6:7], -v[27:28], v[13:14], v[8:9]
	v_fma_f64 v[8:9], v[25:26], v[13:14], -v[0:1]
	v_fma_f64 v[0:1], -v[25:26], v[11:12], v[2:3]
	v_fma_f64 v[2:3], v[27:28], v[11:12], v[4:5]
	v_fma_f64 v[4:5], v[25:26], v[11:12], v[6:7]
	;; [unrolled: 1-line block ×3, first 2 shown]
	ds_write_b128 v116, v[0:3] offset:1632
	ds_write_b128 v10, v[4:7] offset:8160
	ds_read_b128 v[0:3], v116 offset:2448
	ds_read_b128 v[4:7], v10 offset:7344
	global_load_dwordx4 v[11:14], v[23:24], off offset:4080
	s_waitcnt lgkmcnt(0)
	v_add_f64 v[8:9], v[0:1], v[4:5]
	v_add_f64 v[23:24], v[6:7], v[2:3]
	v_add_f64 v[25:26], v[0:1], -v[4:5]
	v_add_f64 v[0:1], v[2:3], -v[6:7]
	s_waitcnt vmcnt(2)
	v_fma_f64 v[2:3], v[25:26], v[21:22], v[8:9]
	v_fma_f64 v[4:5], v[23:24], v[21:22], v[0:1]
	v_fma_f64 v[6:7], -v[25:26], v[21:22], v[8:9]
	v_fma_f64 v[8:9], v[23:24], v[21:22], -v[0:1]
	v_fma_f64 v[0:1], -v[23:24], v[19:20], v[2:3]
	v_fma_f64 v[2:3], v[25:26], v[19:20], v[4:5]
	v_fma_f64 v[4:5], v[23:24], v[19:20], v[6:7]
	;; [unrolled: 1-line block ×3, first 2 shown]
	ds_write_b128 v116, v[0:3] offset:2448
	ds_write_b128 v10, v[4:7] offset:7344
	ds_read_b128 v[0:3], v116 offset:3264
	ds_read_b128 v[4:7], v10 offset:6528
	s_waitcnt lgkmcnt(0)
	v_add_f64 v[8:9], v[0:1], v[4:5]
	v_add_f64 v[19:20], v[6:7], v[2:3]
	v_add_f64 v[21:22], v[0:1], -v[4:5]
	v_add_f64 v[0:1], v[2:3], -v[6:7]
	s_waitcnt vmcnt(1)
	v_fma_f64 v[2:3], v[21:22], v[17:18], v[8:9]
	v_fma_f64 v[4:5], v[19:20], v[17:18], v[0:1]
	v_fma_f64 v[6:7], -v[21:22], v[17:18], v[8:9]
	v_fma_f64 v[8:9], v[19:20], v[17:18], -v[0:1]
	v_fma_f64 v[0:1], -v[19:20], v[15:16], v[2:3]
	v_fma_f64 v[2:3], v[21:22], v[15:16], v[4:5]
	v_fma_f64 v[4:5], v[19:20], v[15:16], v[6:7]
	;; [unrolled: 1-line block ×3, first 2 shown]
	ds_write_b128 v116, v[0:3] offset:3264
	ds_write_b128 v10, v[4:7] offset:6528
	ds_read_b128 v[0:3], v116 offset:4080
	ds_read_b128 v[4:7], v10 offset:5712
	s_waitcnt lgkmcnt(0)
	v_add_f64 v[8:9], v[0:1], v[4:5]
	v_add_f64 v[15:16], v[6:7], v[2:3]
	v_add_f64 v[17:18], v[0:1], -v[4:5]
	v_add_f64 v[0:1], v[2:3], -v[6:7]
	s_waitcnt vmcnt(0)
	v_fma_f64 v[2:3], v[17:18], v[13:14], v[8:9]
	v_fma_f64 v[4:5], v[15:16], v[13:14], v[0:1]
	v_fma_f64 v[6:7], -v[17:18], v[13:14], v[8:9]
	v_fma_f64 v[8:9], v[15:16], v[13:14], -v[0:1]
	v_fma_f64 v[0:1], -v[15:16], v[11:12], v[2:3]
	v_fma_f64 v[2:3], v[17:18], v[11:12], v[4:5]
	v_fma_f64 v[4:5], v[15:16], v[11:12], v[6:7]
	;; [unrolled: 1-line block ×3, first 2 shown]
	ds_write_b128 v116, v[0:3] offset:4080
	ds_write_b128 v10, v[4:7] offset:5712
	s_waitcnt lgkmcnt(0)
	; wave barrier
	s_waitcnt lgkmcnt(0)
	s_waitcnt lgkmcnt(0)
	; wave barrier
	s_waitcnt lgkmcnt(0)
	ds_read_b128 v[0:3], v116
	ds_read_b128 v[44:47], v116 offset:576
	ds_read_b128 v[48:51], v116 offset:1152
	;; [unrolled: 1-line block ×16, first 2 shown]
	s_waitcnt lgkmcnt(0)
	; wave barrier
	s_waitcnt lgkmcnt(0)
	s_and_saveexec_b64 s[4:5], vcc
	s_cbranch_execz .LBB0_21
; %bb.20:
	v_add_f64 v[82:83], v[2:3], v[46:47]
	v_add_f64 v[84:85], v[0:1], v[44:45]
	v_add_f64 v[100:101], v[8:9], -v[12:13]
	v_add_f64 v[92:93], v[54:55], v[34:35]
	v_add_f64 v[104:105], v[54:55], -v[34:35]
	s_mov_b32 s14, 0xacd6c6b4
	s_mov_b32 s15, 0xbfc7851a
	v_add_f64 v[86:87], v[40:41], -v[36:37]
	v_add_f64 v[90:91], v[82:83], v[50:51]
	v_add_f64 v[94:95], v[84:85], v[48:49]
	v_add_f64 v[82:83], v[8:9], v[12:13]
	v_add_f64 v[80:81], v[42:43], v[38:39]
	v_add_f64 v[78:79], v[40:41], v[36:37]
	v_add_f64 v[88:89], v[42:43], -v[38:39]
	v_add_f64 v[102:103], v[52:53], -v[32:33]
	v_add_f64 v[96:97], v[62:63], v[30:31]
	v_add_f64 v[98:99], v[90:91], v[58:59]
	;; [unrolled: 1-line block ×4, first 2 shown]
	v_add_f64 v[106:107], v[62:63], -v[30:31]
	s_mov_b32 s6, 0x7faef3
	s_mov_b32 s18, 0x5d8e7cdc
	;; [unrolled: 1-line block ×4, first 2 shown]
	v_add_f64 v[117:118], v[98:99], v[66:67]
	v_add_f64 v[119:120], v[110:111], v[64:65]
	v_add_f64 v[108:109], v[60:61], -v[28:29]
	v_add_f64 v[94:95], v[60:61], v[28:29]
	v_add_f64 v[98:99], v[66:67], v[26:27]
	v_add_f64 v[110:111], v[66:67], -v[26:27]
	v_add_f64 v[114:115], v[56:57], -v[20:21]
	v_add_f64 v[66:67], v[58:59], v[22:23]
	v_add_f64 v[117:118], v[117:118], v[62:63]
	;; [unrolled: 1-line block ×3, first 2 shown]
	v_add_f64 v[62:63], v[48:49], -v[16:17]
	v_add_f64 v[60:61], v[58:59], -v[22:23]
	v_add_f64 v[58:59], v[50:51], v[18:19]
	s_mov_b32 s8, 0x370991
	s_mov_b32 s24, 0x4363dd80
	;; [unrolled: 1-line block ×3, first 2 shown]
	v_add_f64 v[117:118], v[117:118], v[54:55]
	v_add_f64 v[119:120], v[119:120], v[52:53]
	v_add_f64 v[54:55], v[44:45], -v[4:5]
	v_add_f64 v[52:53], v[46:47], v[6:7]
	s_mov_b32 s25, 0xbfe0d888
	v_add_f64 v[112:113], v[64:65], -v[24:25]
	v_add_f64 v[46:47], v[46:47], -v[6:7]
	s_mov_b32 s16, 0x910ea3b9
	v_add_f64 v[117:118], v[117:118], v[10:11]
	v_add_f64 v[8:9], v[119:120], v[8:9]
	s_mov_b32 s42, 0x2a9d6da3
	s_mov_b32 s17, 0xbfeb34fa
	;; [unrolled: 1-line block ×3, first 2 shown]
	v_add_f64 v[50:51], v[50:51], -v[18:19]
	v_add_f64 v[44:45], v[44:45], v[4:5]
	s_mov_b32 s22, 0x75d4884
	v_add_f64 v[42:43], v[117:118], v[42:43]
	v_add_f64 v[8:9], v[8:9], v[40:41]
	v_mul_f64 v[40:41], v[54:55], s[14:15]
	v_mul_f64 v[117:118], v[46:47], s[14:15]
	s_mov_b32 s28, 0x6c9a05f6
	s_mov_b32 s23, 0x3fe7a5f6
	;; [unrolled: 1-line block ×3, first 2 shown]
	v_add_f64 v[48:49], v[48:49], v[16:17]
	v_add_f64 v[38:39], v[42:43], v[38:39]
	;; [unrolled: 1-line block ×3, first 2 shown]
	v_mul_f64 v[36:37], v[62:63], s[18:19]
	v_fma_f64 v[42:43], v[52:53], s[6:7], v[40:41]
	s_mov_b32 s20, 0x6ed5f1bb
	s_mov_b32 s34, 0x7c9e640b
	;; [unrolled: 1-line block ×4, first 2 shown]
	v_add_f64 v[38:39], v[38:39], v[14:15]
	v_add_f64 v[8:9], v[8:9], v[12:13]
	v_mul_f64 v[12:13], v[114:115], s[24:25]
	v_fma_f64 v[119:120], v[58:59], s[8:9], v[36:37]
	v_add_f64 v[42:43], v[2:3], v[42:43]
	v_add_f64 v[64:65], v[64:65], v[24:25]
	;; [unrolled: 1-line block ×3, first 2 shown]
	s_mov_b32 s26, 0x2b2883cd
	v_add_f64 v[34:35], v[38:39], v[34:35]
	v_add_f64 v[8:9], v[8:9], v[32:33]
	v_mul_f64 v[32:33], v[112:113], s[42:43]
	v_fma_f64 v[121:122], v[66:67], s[16:17], v[12:13]
	v_add_f64 v[42:43], v[119:120], v[42:43]
	v_mul_f64 v[38:39], v[50:51], s[18:19]
	v_fma_f64 v[119:120], v[44:45], s[6:7], -v[117:118]
	s_mov_b32 s27, 0x3fdc86fa
	v_add_f64 v[30:31], v[34:35], v[30:31]
	v_add_f64 v[8:9], v[8:9], v[28:29]
	v_mul_f64 v[28:29], v[108:109], s[28:29]
	v_fma_f64 v[123:124], v[98:99], s[22:23], v[32:33]
	v_add_f64 v[42:43], v[121:122], v[42:43]
	v_mul_f64 v[34:35], v[60:61], s[24:25]
	v_fma_f64 v[125:126], v[48:49], s[8:9], -v[38:39]
	v_add_f64 v[119:120], v[0:1], v[119:120]
	v_add_f64 v[26:27], v[30:31], v[26:27]
	;; [unrolled: 1-line block ×3, first 2 shown]
	v_mul_f64 v[24:25], v[102:103], s[34:35]
	v_fma_f64 v[121:122], v[96:97], s[20:21], v[28:29]
	v_add_f64 v[42:43], v[123:124], v[42:43]
	v_mul_f64 v[30:31], v[110:111], s[42:43]
	v_fma_f64 v[127:128], v[56:57], s[16:17], -v[34:35]
	v_add_f64 v[119:120], v[125:126], v[119:120]
	v_add_f64 v[22:23], v[26:27], v[22:23]
	;; [unrolled: 1-line block ×3, first 2 shown]
	v_fma_f64 v[26:27], v[92:93], s[26:27], v[24:25]
	s_mov_b32 s38, 0x923c349f
	v_add_f64 v[42:43], v[121:122], v[42:43]
	s_mov_b32 s39, 0xbfeec746
	v_add_f64 v[84:85], v[10:11], v[14:15]
	v_mul_f64 v[20:21], v[106:107], s[28:29]
	v_fma_f64 v[121:122], v[64:65], s[22:23], -v[30:31]
	v_add_f64 v[119:120], v[127:128], v[119:120]
	v_add_f64 v[18:19], v[22:23], v[18:19]
	;; [unrolled: 1-line block ×3, first 2 shown]
	v_mul_f64 v[16:17], v[100:101], s[38:39]
	v_add_f64 v[22:23], v[26:27], v[42:43]
	v_fma_f64 v[26:27], v[52:53], s[6:7], -v[40:41]
	s_mov_b32 s30, 0xc61f0d01
	s_mov_b32 s31, 0xbfd183b1
	v_add_f64 v[42:43], v[121:122], v[119:120]
	v_fma_f64 v[119:120], v[94:95], s[20:21], -v[20:21]
	v_mul_f64 v[121:122], v[104:105], s[34:35]
	v_fma_f64 v[123:124], v[84:85], s[30:31], v[16:17]
	v_fma_f64 v[36:37], v[58:59], s[8:9], -v[36:37]
	v_add_f64 v[26:27], v[2:3], v[26:27]
	v_add_f64 v[40:41], v[10:11], -v[14:15]
	v_fma_f64 v[14:15], v[44:45], s[6:7], v[117:118]
	v_add_f64 v[6:7], v[18:19], v[6:7]
	v_add_f64 v[10:11], v[119:120], v[42:43]
	v_fma_f64 v[42:43], v[90:91], s[26:27], -v[121:122]
	v_add_f64 v[4:5], v[8:9], v[4:5]
	v_add_f64 v[8:9], v[123:124], v[22:23]
	;; [unrolled: 1-line block ×3, first 2 shown]
	v_fma_f64 v[12:13], v[66:67], s[16:17], -v[12:13]
	v_fma_f64 v[22:23], v[48:49], s[8:9], v[38:39]
	v_add_f64 v[14:15], v[0:1], v[14:15]
	v_mul_f64 v[26:27], v[40:41], s[38:39]
	s_mov_b32 s56, 0xeb564b22
	s_mov_b32 s57, 0x3fefdd0d
	v_add_f64 v[10:11], v[42:43], v[10:11]
	v_mul_f64 v[36:37], v[86:87], s[56:57]
	v_add_f64 v[12:13], v[12:13], v[18:19]
	v_mul_f64 v[18:19], v[54:55], s[24:25]
	v_fma_f64 v[32:33], v[98:99], s[22:23], -v[32:33]
	v_add_f64 v[14:15], v[22:23], v[14:15]
	v_fma_f64 v[22:23], v[56:57], s[16:17], v[34:35]
	v_fma_f64 v[34:35], v[82:83], s[30:31], -v[26:27]
	s_mov_b32 s36, 0x3259b75e
	s_mov_b32 s37, 0x3fb79ee6
	v_fma_f64 v[38:39], v[80:81], s[36:37], v[36:37]
	v_fma_f64 v[42:43], v[52:53], s[16:17], v[18:19]
	v_mul_f64 v[117:118], v[62:63], s[34:35]
	v_add_f64 v[12:13], v[32:33], v[12:13]
	v_fma_f64 v[28:29], v[96:97], s[20:21], -v[28:29]
	v_add_f64 v[14:15], v[22:23], v[14:15]
	v_fma_f64 v[22:23], v[64:65], s[22:23], v[30:31]
	v_add_f64 v[30:31], v[34:35], v[10:11]
	v_mul_f64 v[34:35], v[46:47], s[24:25]
	s_mov_b32 s41, 0xbfefdd0d
	s_mov_b32 s40, s56
	v_add_f64 v[10:11], v[38:39], v[8:9]
	v_add_f64 v[8:9], v[2:3], v[42:43]
	v_fma_f64 v[32:33], v[58:59], s[26:27], v[117:118]
	v_mul_f64 v[38:39], v[114:115], s[40:41]
	v_add_f64 v[12:13], v[28:29], v[12:13]
	v_add_f64 v[14:15], v[22:23], v[14:15]
	v_fma_f64 v[22:23], v[44:45], s[16:17], -v[34:35]
	v_mul_f64 v[28:29], v[50:51], s[34:35]
	s_mov_b32 s51, 0x3fe9895b
	s_mov_b32 s50, s28
	v_fma_f64 v[24:25], v[92:93], s[26:27], -v[24:25]
	v_add_f64 v[8:9], v[32:33], v[8:9]
	v_fma_f64 v[32:33], v[66:67], s[36:37], v[38:39]
	v_mul_f64 v[119:120], v[112:113], s[50:51]
	v_add_f64 v[22:23], v[0:1], v[22:23]
	v_fma_f64 v[125:126], v[48:49], s[26:27], -v[28:29]
	v_mul_f64 v[127:128], v[60:61], s[40:41]
	s_mov_b32 s45, 0xbfd71e95
	s_mov_b32 s44, s18
	v_mul_f64 v[42:43], v[88:89], s[56:57]
	v_fma_f64 v[20:21], v[94:95], s[20:21], v[20:21]
	v_add_f64 v[12:13], v[24:25], v[12:13]
	v_add_f64 v[8:9], v[32:33], v[8:9]
	v_fma_f64 v[24:25], v[98:99], s[20:21], v[119:120]
	v_mul_f64 v[32:33], v[108:109], s[44:45]
	v_add_f64 v[22:23], v[125:126], v[22:23]
	v_fma_f64 v[125:126], v[56:57], s[36:37], -v[127:128]
	v_mul_f64 v[129:130], v[110:111], s[50:51]
	v_fma_f64 v[123:124], v[78:79], s[36:37], -v[42:43]
	v_add_f64 v[14:15], v[20:21], v[14:15]
	v_fma_f64 v[20:21], v[90:91], s[26:27], v[121:122]
	v_add_f64 v[24:25], v[24:25], v[8:9]
	v_fma_f64 v[121:122], v[96:97], s[8:9], v[32:33]
	v_mul_f64 v[131:132], v[102:103], s[14:15]
	v_add_f64 v[22:23], v[125:126], v[22:23]
	v_fma_f64 v[125:126], v[64:65], s[20:21], -v[129:130]
	v_mul_f64 v[133:134], v[106:107], s[44:45]
	v_fma_f64 v[16:17], v[84:85], s[30:31], -v[16:17]
	v_add_f64 v[8:9], v[123:124], v[30:31]
	v_add_f64 v[14:15], v[20:21], v[14:15]
	v_fma_f64 v[20:21], v[82:83], s[30:31], v[26:27]
	v_add_f64 v[24:25], v[121:122], v[24:25]
	v_fma_f64 v[26:27], v[92:93], s[6:7], v[131:132]
	v_mul_f64 v[30:31], v[100:101], s[42:43]
	v_add_f64 v[22:23], v[125:126], v[22:23]
	v_fma_f64 v[121:122], v[94:95], s[8:9], -v[133:134]
	v_mul_f64 v[123:124], v[104:105], s[14:15]
	v_fma_f64 v[18:19], v[52:53], s[16:17], -v[18:19]
	v_add_f64 v[12:13], v[16:17], v[12:13]
	v_add_f64 v[14:15], v[20:21], v[14:15]
	v_fma_f64 v[16:17], v[80:81], s[36:37], -v[36:37]
	v_add_f64 v[20:21], v[26:27], v[24:25]
	v_fma_f64 v[24:25], v[84:85], s[22:23], v[30:31]
	v_add_f64 v[22:23], v[121:122], v[22:23]
	v_fma_f64 v[26:27], v[90:91], s[6:7], -v[123:124]
	v_mul_f64 v[36:37], v[40:41], s[42:43]
	v_mul_f64 v[121:122], v[86:87], s[38:39]
	v_fma_f64 v[117:118], v[58:59], s[26:27], -v[117:118]
	v_fma_f64 v[34:35], v[44:45], s[16:17], v[34:35]
	v_add_f64 v[125:126], v[2:3], v[18:19]
	v_fma_f64 v[42:43], v[78:79], s[36:37], v[42:43]
	v_add_f64 v[20:21], v[24:25], v[20:21]
	v_add_f64 v[22:23], v[26:27], v[22:23]
	v_fma_f64 v[24:25], v[82:83], s[22:23], -v[36:37]
	v_fma_f64 v[26:27], v[80:81], s[30:31], v[121:122]
	v_add_f64 v[18:19], v[16:17], v[12:13]
	v_fma_f64 v[12:13], v[48:49], s[26:27], v[28:29]
	v_add_f64 v[28:29], v[0:1], v[34:35]
	v_add_f64 v[34:35], v[117:118], v[125:126]
	v_fma_f64 v[38:39], v[66:67], s[36:37], -v[38:39]
	v_add_f64 v[16:17], v[42:43], v[14:15]
	v_add_f64 v[22:23], v[24:25], v[22:23]
	;; [unrolled: 1-line block ×3, first 2 shown]
	v_mul_f64 v[20:21], v[54:55], s[28:29]
	v_mul_f64 v[24:25], v[88:89], s[38:39]
	v_add_f64 v[12:13], v[12:13], v[28:29]
	v_fma_f64 v[26:27], v[56:57], s[36:37], v[127:128]
	v_add_f64 v[28:29], v[38:39], v[34:35]
	v_fma_f64 v[34:35], v[98:99], s[20:21], -v[119:120]
	s_mov_b32 s47, 0x3feec746
	s_mov_b32 s46, s38
	v_fma_f64 v[38:39], v[52:53], s[20:21], v[20:21]
	v_mul_f64 v[42:43], v[62:63], s[46:47]
	v_fma_f64 v[117:118], v[78:79], s[30:31], -v[24:25]
	v_add_f64 v[26:27], v[26:27], v[12:13]
	v_fma_f64 v[119:120], v[64:65], s[20:21], v[129:130]
	v_add_f64 v[28:29], v[34:35], v[28:29]
	v_fma_f64 v[32:33], v[96:97], s[8:9], -v[32:33]
	v_mul_f64 v[34:35], v[46:47], s[28:29]
	v_add_f64 v[38:39], v[2:3], v[38:39]
	v_fma_f64 v[125:126], v[58:59], s[30:31], v[42:43]
	v_mul_f64 v[127:128], v[114:115], s[44:45]
	v_add_f64 v[12:13], v[117:118], v[22:23]
	v_add_f64 v[22:23], v[119:120], v[26:27]
	v_fma_f64 v[26:27], v[94:95], s[8:9], v[133:134]
	v_add_f64 v[28:29], v[32:33], v[28:29]
	v_fma_f64 v[32:33], v[44:45], s[20:21], -v[34:35]
	v_mul_f64 v[117:118], v[50:51], s[46:47]
	v_add_f64 v[38:39], v[125:126], v[38:39]
	v_fma_f64 v[119:120], v[66:67], s[8:9], v[127:128]
	v_mul_f64 v[125:126], v[112:113], s[24:25]
	v_fma_f64 v[129:130], v[92:93], s[6:7], -v[131:132]
	v_add_f64 v[22:23], v[26:27], v[22:23]
	v_fma_f64 v[26:27], v[90:91], s[6:7], v[123:124]
	v_add_f64 v[32:33], v[0:1], v[32:33]
	v_fma_f64 v[123:124], v[48:49], s[30:31], -v[117:118]
	v_mul_f64 v[131:132], v[60:61], s[44:45]
	v_add_f64 v[38:39], v[119:120], v[38:39]
	v_fma_f64 v[119:120], v[98:99], s[16:17], v[125:126]
	v_mul_f64 v[133:134], v[108:109], s[56:57]
	s_mov_b32 s49, 0xbfe58eea
	v_add_f64 v[22:23], v[26:27], v[22:23]
	s_mov_b32 s48, s42
	v_add_f64 v[26:27], v[123:124], v[32:33]
	v_fma_f64 v[32:33], v[56:57], s[8:9], -v[131:132]
	v_mul_f64 v[123:124], v[110:111], s[24:25]
	v_add_f64 v[28:29], v[129:130], v[28:29]
	v_fma_f64 v[30:31], v[84:85], s[22:23], -v[30:31]
	v_fma_f64 v[36:37], v[82:83], s[22:23], v[36:37]
	v_add_f64 v[38:39], v[119:120], v[38:39]
	v_fma_f64 v[119:120], v[96:97], s[36:37], v[133:134]
	v_mul_f64 v[129:130], v[102:103], s[48:49]
	v_add_f64 v[26:27], v[32:33], v[26:27]
	v_fma_f64 v[32:33], v[64:65], s[16:17], -v[123:124]
	v_mul_f64 v[135:136], v[106:107], s[56:57]
	v_fma_f64 v[20:21], v[52:53], s[20:21], -v[20:21]
	v_add_f64 v[28:29], v[30:31], v[28:29]
	v_add_f64 v[30:31], v[36:37], v[22:23]
	v_fma_f64 v[22:23], v[80:81], s[30:31], -v[121:122]
	v_add_f64 v[36:37], v[119:120], v[38:39]
	v_mul_f64 v[38:39], v[104:105], s[48:49]
	v_add_f64 v[26:27], v[32:33], v[26:27]
	v_fma_f64 v[32:33], v[94:95], s[36:37], -v[135:136]
	v_fma_f64 v[42:43], v[58:59], s[30:31], -v[42:43]
	v_add_f64 v[20:21], v[2:3], v[20:21]
	v_fma_f64 v[119:120], v[92:93], s[22:23], v[129:130]
	v_mul_f64 v[121:122], v[100:101], s[14:15]
	v_fma_f64 v[34:35], v[44:45], s[20:21], v[34:35]
	v_fma_f64 v[24:25], v[78:79], s[30:31], v[24:25]
	v_add_f64 v[22:23], v[22:23], v[28:29]
	v_add_f64 v[26:27], v[32:33], v[26:27]
	v_fma_f64 v[28:29], v[90:91], s[22:23], -v[38:39]
	v_mul_f64 v[32:33], v[40:41], s[14:15]
	v_add_f64 v[20:21], v[42:43], v[20:21]
	v_fma_f64 v[42:43], v[66:67], s[8:9], -v[127:128]
	v_fma_f64 v[117:118], v[48:49], s[30:31], v[117:118]
	v_add_f64 v[34:35], v[0:1], v[34:35]
	v_add_f64 v[36:37], v[119:120], v[36:37]
	v_fma_f64 v[119:120], v[84:85], s[6:7], v[121:122]
	v_add_f64 v[26:27], v[28:29], v[26:27]
	v_fma_f64 v[28:29], v[82:83], s[6:7], -v[32:33]
	v_mul_f64 v[127:128], v[86:87], s[34:35]
	v_add_f64 v[42:43], v[42:43], v[20:21]
	v_fma_f64 v[125:126], v[98:99], s[16:17], -v[125:126]
	v_add_f64 v[34:35], v[117:118], v[34:35]
	v_fma_f64 v[117:118], v[56:57], s[8:9], v[131:132]
	v_add_f64 v[20:21], v[24:25], v[30:31]
	v_add_f64 v[24:25], v[119:120], v[36:37]
	v_mul_f64 v[36:37], v[54:55], s[38:39]
	s_mov_b32 s53, 0x3fe0d888
	s_mov_b32 s52, s24
	v_add_f64 v[28:29], v[28:29], v[26:27]
	v_fma_f64 v[26:27], v[80:81], s[26:27], v[127:128]
	v_add_f64 v[30:31], v[125:126], v[42:43]
	v_add_f64 v[34:35], v[117:118], v[34:35]
	v_fma_f64 v[117:118], v[64:65], s[16:17], v[123:124]
	v_fma_f64 v[123:124], v[52:53], s[30:31], v[36:37]
	v_mul_f64 v[125:126], v[62:63], s[52:53]
	v_fma_f64 v[42:43], v[96:97], s[36:37], -v[133:134]
	v_mul_f64 v[131:132], v[114:115], s[42:43]
	v_add_f64 v[26:27], v[26:27], v[24:25]
	s_mov_b32 s55, 0xbfeca52d
	s_mov_b32 s54, s34
	v_add_f64 v[34:35], v[117:118], v[34:35]
	v_fma_f64 v[117:118], v[94:95], s[36:37], v[135:136]
	v_add_f64 v[24:25], v[2:3], v[123:124]
	v_fma_f64 v[123:124], v[58:59], s[16:17], v[125:126]
	v_add_f64 v[30:31], v[42:43], v[30:31]
	v_fma_f64 v[42:43], v[92:93], s[22:23], -v[129:130]
	v_mul_f64 v[129:130], v[46:47], s[38:39]
	v_fma_f64 v[38:39], v[90:91], s[22:23], v[38:39]
	v_mul_f64 v[135:136], v[112:113], s[54:55]
	v_add_f64 v[34:35], v[117:118], v[34:35]
	v_mul_f64 v[119:120], v[88:89], s[34:35]
	v_add_f64 v[24:25], v[123:124], v[24:25]
	v_fma_f64 v[123:124], v[66:67], s[22:23], v[131:132]
	v_add_f64 v[30:31], v[42:43], v[30:31]
	v_fma_f64 v[42:43], v[44:45], s[30:31], -v[129:130]
	v_mul_f64 v[117:118], v[50:51], s[52:53]
	v_fma_f64 v[121:122], v[84:85], s[6:7], -v[121:122]
	v_add_f64 v[34:35], v[38:39], v[34:35]
	v_fma_f64 v[32:33], v[82:83], s[6:7], v[32:33]
	v_fma_f64 v[38:39], v[98:99], s[26:27], v[135:136]
	v_add_f64 v[24:25], v[123:124], v[24:25]
	v_mul_f64 v[123:124], v[108:109], s[14:15]
	v_fma_f64 v[133:134], v[78:79], s[26:27], -v[119:120]
	v_add_f64 v[42:43], v[0:1], v[42:43]
	v_fma_f64 v[137:138], v[48:49], s[16:17], -v[117:118]
	v_mul_f64 v[139:140], v[60:61], s[42:43]
	v_add_f64 v[30:31], v[121:122], v[30:31]
	v_add_f64 v[32:33], v[32:33], v[34:35]
	v_fma_f64 v[34:35], v[80:81], s[26:27], -v[127:128]
	v_fma_f64 v[119:120], v[78:79], s[26:27], v[119:120]
	v_add_f64 v[38:39], v[38:39], v[24:25]
	v_fma_f64 v[121:122], v[96:97], s[6:7], v[123:124]
	v_add_f64 v[42:43], v[137:138], v[42:43]
	v_fma_f64 v[137:138], v[56:57], s[22:23], -v[139:140]
	v_mul_f64 v[141:142], v[110:111], s[54:55]
	v_add_f64 v[24:25], v[133:134], v[28:29]
	v_add_f64 v[30:31], v[34:35], v[30:31]
	;; [unrolled: 1-line block ×3, first 2 shown]
	v_fma_f64 v[34:35], v[52:53], s[30:31], -v[36:37]
	v_add_f64 v[32:33], v[121:122], v[38:39]
	v_fma_f64 v[38:39], v[44:45], s[30:31], v[129:130]
	v_add_f64 v[42:43], v[137:138], v[42:43]
	v_fma_f64 v[127:128], v[64:65], s[26:27], -v[141:142]
	v_mul_f64 v[133:134], v[106:107], s[14:15]
	v_mul_f64 v[137:138], v[102:103], s[56:57]
	v_fma_f64 v[125:126], v[58:59], s[16:17], -v[125:126]
	v_add_f64 v[34:35], v[2:3], v[34:35]
	v_fma_f64 v[117:118], v[48:49], s[16:17], v[117:118]
	v_add_f64 v[38:39], v[0:1], v[38:39]
	v_mul_f64 v[119:120], v[104:105], s[56:57]
	v_add_f64 v[36:37], v[127:128], v[42:43]
	v_fma_f64 v[42:43], v[94:95], s[6:7], -v[133:134]
	v_fma_f64 v[121:122], v[92:93], s[36:37], v[137:138]
	v_mul_f64 v[127:128], v[100:101], s[44:45]
	v_add_f64 v[34:35], v[125:126], v[34:35]
	v_fma_f64 v[125:126], v[66:67], s[22:23], -v[131:132]
	v_add_f64 v[38:39], v[117:118], v[38:39]
	v_fma_f64 v[117:118], v[56:57], s[22:23], v[139:140]
	v_mul_f64 v[129:130], v[40:41], s[44:45]
	v_add_f64 v[36:37], v[42:43], v[36:37]
	v_fma_f64 v[42:43], v[90:91], s[36:37], -v[119:120]
	v_add_f64 v[32:33], v[121:122], v[32:33]
	v_fma_f64 v[121:122], v[84:85], s[8:9], v[127:128]
	v_add_f64 v[34:35], v[125:126], v[34:35]
	v_fma_f64 v[125:126], v[98:99], s[26:27], -v[135:136]
	v_add_f64 v[38:39], v[117:118], v[38:39]
	v_fma_f64 v[117:118], v[64:65], s[26:27], v[141:142]
	v_mul_f64 v[131:132], v[86:87], s[28:29]
	v_add_f64 v[36:37], v[42:43], v[36:37]
	v_fma_f64 v[42:43], v[82:83], s[8:9], -v[129:130]
	v_add_f64 v[32:33], v[121:122], v[32:33]
	v_mul_f64 v[121:122], v[54:55], s[40:41]
	v_add_f64 v[125:126], v[125:126], v[34:35]
	v_fma_f64 v[123:124], v[96:97], s[6:7], -v[123:124]
	v_add_f64 v[38:39], v[117:118], v[38:39]
	v_fma_f64 v[117:118], v[94:95], s[6:7], v[133:134]
	v_mul_f64 v[135:136], v[88:89], s[28:29]
	v_add_f64 v[36:37], v[42:43], v[36:37]
	v_fma_f64 v[42:43], v[80:81], s[20:21], v[131:132]
	v_fma_f64 v[139:140], v[52:53], s[36:37], v[121:122]
	v_mul_f64 v[141:142], v[62:63], s[14:15]
	v_add_f64 v[123:124], v[123:124], v[125:126]
	v_fma_f64 v[125:126], v[92:93], s[36:37], -v[137:138]
	v_add_f64 v[38:39], v[117:118], v[38:39]
	v_fma_f64 v[117:118], v[90:91], s[36:37], v[119:120]
	v_mul_f64 v[119:120], v[46:47], s[40:41]
	v_add_f64 v[34:35], v[42:43], v[32:33]
	v_fma_f64 v[32:33], v[78:79], s[20:21], -v[135:136]
	v_add_f64 v[42:43], v[2:3], v[139:140]
	;; [unrolled: 5-line block ×3, first 2 shown]
	v_fma_f64 v[117:118], v[44:45], s[36:37], -v[119:120]
	v_mul_f64 v[127:128], v[50:51], s[14:15]
	v_add_f64 v[32:33], v[32:33], v[36:37]
	v_add_f64 v[36:37], v[133:134], v[42:43]
	v_fma_f64 v[42:43], v[66:67], s[30:31], v[139:140]
	v_mul_f64 v[133:134], v[112:113], s[18:19]
	v_fma_f64 v[129:130], v[82:83], s[8:9], v[129:130]
	v_add_f64 v[123:124], v[125:126], v[123:124]
	v_fma_f64 v[125:126], v[80:81], s[20:21], -v[131:132]
	v_add_f64 v[117:118], v[0:1], v[117:118]
	v_fma_f64 v[131:132], v[48:49], s[6:7], -v[127:128]
	v_mul_f64 v[143:144], v[60:61], s[46:47]
	v_fma_f64 v[121:122], v[52:53], s[36:37], -v[121:122]
	v_fma_f64 v[119:120], v[44:45], s[36:37], v[119:120]
	v_add_f64 v[36:37], v[42:43], v[36:37]
	v_fma_f64 v[42:43], v[98:99], s[8:9], v[133:134]
	v_mul_f64 v[137:138], v[108:109], s[54:55]
	v_add_f64 v[129:130], v[129:130], v[38:39]
	v_add_f64 v[38:39], v[125:126], v[123:124]
	;; [unrolled: 1-line block ×3, first 2 shown]
	v_fma_f64 v[123:124], v[56:57], s[30:31], -v[143:144]
	v_mul_f64 v[125:126], v[110:111], s[18:19]
	v_fma_f64 v[131:132], v[58:59], s[6:7], -v[141:142]
	v_add_f64 v[121:122], v[2:3], v[121:122]
	v_fma_f64 v[127:128], v[48:49], s[6:7], v[127:128]
	v_add_f64 v[119:120], v[0:1], v[119:120]
	v_add_f64 v[36:37], v[42:43], v[36:37]
	v_fma_f64 v[42:43], v[96:97], s[26:27], v[137:138]
	v_add_f64 v[117:118], v[123:124], v[117:118]
	v_fma_f64 v[123:124], v[64:65], s[8:9], -v[125:126]
	v_mul_f64 v[141:142], v[106:107], s[54:55]
	v_add_f64 v[121:122], v[131:132], v[121:122]
	v_fma_f64 v[131:132], v[66:67], s[30:31], -v[139:140]
	v_add_f64 v[119:120], v[127:128], v[119:120]
	v_fma_f64 v[127:128], v[56:57], s[30:31], v[143:144]
	v_add_f64 v[36:37], v[42:43], v[36:37]
	v_mul_f64 v[42:43], v[102:103], s[24:25]
	v_add_f64 v[117:118], v[123:124], v[117:118]
	v_fma_f64 v[123:124], v[94:95], s[26:27], -v[141:142]
	v_mul_f64 v[139:140], v[104:105], s[24:25]
	v_add_f64 v[121:122], v[131:132], v[121:122]
	v_fma_f64 v[131:132], v[98:99], s[8:9], -v[133:134]
	v_add_f64 v[119:120], v[127:128], v[119:120]
	v_fma_f64 v[125:126], v[64:65], s[8:9], v[125:126]
	v_fma_f64 v[135:136], v[78:79], s[20:21], v[135:136]
	;; [unrolled: 1-line block ×3, first 2 shown]
	v_mul_f64 v[147:148], v[100:101], s[50:51]
	v_add_f64 v[117:118], v[123:124], v[117:118]
	v_fma_f64 v[123:124], v[90:91], s[16:17], -v[139:140]
	v_mul_f64 v[127:128], v[40:41], s[50:51]
	v_add_f64 v[121:122], v[131:132], v[121:122]
	v_fma_f64 v[131:132], v[96:97], s[26:27], -v[137:138]
	v_add_f64 v[119:120], v[125:126], v[119:120]
	v_fma_f64 v[125:126], v[94:95], s[26:27], v[141:142]
	v_mul_f64 v[133:134], v[54:55], s[54:55]
	v_add_f64 v[143:144], v[145:146], v[36:37]
	v_fma_f64 v[145:146], v[84:85], s[20:21], v[147:148]
	v_add_f64 v[36:37], v[135:136], v[129:130]
	v_add_f64 v[117:118], v[123:124], v[117:118]
	v_fma_f64 v[123:124], v[82:83], s[20:21], -v[127:128]
	v_mul_f64 v[135:136], v[86:87], s[42:43]
	v_add_f64 v[121:122], v[131:132], v[121:122]
	v_fma_f64 v[42:43], v[92:93], s[16:17], -v[42:43]
	v_add_f64 v[119:120], v[125:126], v[119:120]
	v_fma_f64 v[125:126], v[90:91], s[16:17], v[139:140]
	v_fma_f64 v[131:132], v[52:53], s[26:27], v[133:134]
	v_mul_f64 v[139:140], v[62:63], s[28:29]
	s_mov_b32 s51, 0x3fc7851a
	s_mov_b32 s50, s14
	v_add_f64 v[129:130], v[145:146], v[143:144]
	v_add_f64 v[117:118], v[123:124], v[117:118]
	v_fma_f64 v[123:124], v[80:81], s[22:23], v[135:136]
	v_add_f64 v[42:43], v[42:43], v[121:122]
	v_fma_f64 v[121:122], v[84:85], s[20:21], -v[147:148]
	v_add_f64 v[131:132], v[2:3], v[131:132]
	v_fma_f64 v[143:144], v[58:59], s[20:21], v[139:140]
	v_mul_f64 v[145:146], v[114:115], s[50:51]
	v_mul_f64 v[137:138], v[88:89], s[42:43]
	v_add_f64 v[125:126], v[125:126], v[119:120]
	v_fma_f64 v[127:128], v[82:83], s[20:21], v[127:128]
	v_mul_f64 v[147:148], v[46:47], s[54:55]
	v_add_f64 v[119:120], v[123:124], v[129:130]
	v_add_f64 v[42:43], v[121:122], v[42:43]
	v_fma_f64 v[121:122], v[80:81], s[22:23], -v[135:136]
	v_add_f64 v[129:130], v[143:144], v[131:132]
	v_fma_f64 v[131:132], v[66:67], s[6:7], v[145:146]
	v_fma_f64 v[141:142], v[78:79], s[22:23], -v[137:138]
	v_add_f64 v[125:126], v[127:128], v[125:126]
	v_fma_f64 v[127:128], v[44:45], s[26:27], -v[147:148]
	v_mul_f64 v[135:136], v[50:51], s[28:29]
	v_fma_f64 v[139:140], v[58:59], s[20:21], -v[139:140]
	v_add_f64 v[123:124], v[121:122], v[42:43]
	v_fma_f64 v[42:43], v[52:53], s[26:27], -v[133:134]
	v_add_f64 v[121:122], v[131:132], v[129:130]
	v_fma_f64 v[129:130], v[44:45], s[26:27], v[147:148]
	v_add_f64 v[117:118], v[141:142], v[117:118]
	v_mul_f64 v[141:142], v[112:113], s[46:47]
	v_add_f64 v[127:128], v[0:1], v[127:128]
	v_fma_f64 v[131:132], v[48:49], s[20:21], -v[135:136]
	v_mul_f64 v[133:134], v[60:61], s[50:51]
	v_add_f64 v[42:43], v[2:3], v[42:43]
	v_fma_f64 v[135:136], v[48:49], s[20:21], v[135:136]
	v_add_f64 v[129:130], v[0:1], v[129:130]
	v_mul_f64 v[147:148], v[108:109], s[42:43]
	v_fma_f64 v[143:144], v[98:99], s[30:31], v[141:142]
	v_mul_f64 v[149:150], v[110:111], s[46:47]
	v_add_f64 v[127:128], v[131:132], v[127:128]
	v_fma_f64 v[131:132], v[56:57], s[6:7], -v[133:134]
	v_add_f64 v[42:43], v[139:140], v[42:43]
	v_fma_f64 v[139:140], v[66:67], s[6:7], -v[145:146]
	v_add_f64 v[129:130], v[135:136], v[129:130]
	v_fma_f64 v[133:134], v[56:57], s[6:7], v[133:134]
	v_add_f64 v[121:122], v[143:144], v[121:122]
	v_fma_f64 v[135:136], v[96:97], s[22:23], v[147:148]
	v_mul_f64 v[143:144], v[106:107], s[42:43]
	v_add_f64 v[127:128], v[131:132], v[127:128]
	v_fma_f64 v[131:132], v[64:65], s[30:31], -v[149:150]
	v_mul_f64 v[145:146], v[102:103], s[44:45]
	v_add_f64 v[42:43], v[139:140], v[42:43]
	v_fma_f64 v[139:140], v[98:99], s[30:31], -v[141:142]
	v_add_f64 v[129:130], v[133:134], v[129:130]
	v_fma_f64 v[133:134], v[64:65], s[30:31], v[149:150]
	v_add_f64 v[121:122], v[135:136], v[121:122]
	v_mul_f64 v[135:136], v[104:105], s[44:45]
	v_add_f64 v[127:128], v[131:132], v[127:128]
	v_fma_f64 v[131:132], v[94:95], s[22:23], -v[143:144]
	v_fma_f64 v[141:142], v[92:93], s[8:9], v[145:146]
	v_add_f64 v[42:43], v[139:140], v[42:43]
	v_fma_f64 v[139:140], v[96:97], s[22:23], -v[147:148]
	v_add_f64 v[129:130], v[133:134], v[129:130]
	v_fma_f64 v[133:134], v[94:95], s[22:23], v[143:144]
	v_mul_f64 v[143:144], v[100:101], s[40:41]
	v_fma_f64 v[137:138], v[78:79], s[22:23], v[137:138]
	v_add_f64 v[127:128], v[131:132], v[127:128]
	v_fma_f64 v[131:132], v[90:91], s[8:9], -v[135:136]
	v_mul_f64 v[147:148], v[40:41], s[40:41]
	v_add_f64 v[141:142], v[141:142], v[121:122]
	v_add_f64 v[42:43], v[139:140], v[42:43]
	v_fma_f64 v[121:122], v[92:93], s[8:9], -v[145:146]
	v_add_f64 v[129:130], v[133:134], v[129:130]
	v_fma_f64 v[133:134], v[90:91], s[8:9], v[135:136]
	v_fma_f64 v[135:136], v[84:85], s[36:37], v[143:144]
	v_add_f64 v[127:128], v[131:132], v[127:128]
	v_fma_f64 v[131:132], v[82:83], s[36:37], -v[147:148]
	v_mul_f64 v[139:140], v[86:87], s[24:25]
	v_mul_f64 v[145:146], v[88:89], s[24:25]
	v_add_f64 v[42:43], v[121:122], v[42:43]
	v_fma_f64 v[143:144], v[84:85], s[36:37], -v[143:144]
	v_add_f64 v[129:130], v[133:134], v[129:130]
	v_fma_f64 v[133:134], v[82:83], s[36:37], v[147:148]
	v_add_f64 v[121:122], v[137:138], v[125:126]
	v_add_f64 v[125:126], v[135:136], v[141:142]
	v_mul_f64 v[135:136], v[54:55], s[48:49]
	v_add_f64 v[131:132], v[131:132], v[127:128]
	v_fma_f64 v[127:128], v[80:81], s[16:17], v[139:140]
	v_fma_f64 v[137:138], v[78:79], s[16:17], -v[145:146]
	v_add_f64 v[42:43], v[143:144], v[42:43]
	v_add_f64 v[129:130], v[133:134], v[129:130]
	v_fma_f64 v[133:134], v[80:81], s[16:17], -v[139:140]
	v_fma_f64 v[139:140], v[78:79], s[16:17], v[145:146]
	v_fma_f64 v[141:142], v[52:53], s[22:23], -v[135:136]
	v_mul_f64 v[143:144], v[62:63], s[40:41]
	v_add_f64 v[127:128], v[127:128], v[125:126]
	v_add_f64 v[125:126], v[137:138], v[131:132]
	v_mul_f64 v[54:55], v[54:55], s[44:45]
	v_mul_f64 v[137:138], v[46:47], s[48:49]
	v_add_f64 v[131:132], v[133:134], v[42:43]
	v_add_f64 v[129:130], v[139:140], v[129:130]
	;; [unrolled: 1-line block ×3, first 2 shown]
	v_fma_f64 v[133:134], v[58:59], s[36:37], -v[143:144]
	v_mul_f64 v[139:140], v[114:115], s[28:29]
	v_fma_f64 v[135:136], v[52:53], s[22:23], v[135:136]
	v_fma_f64 v[141:142], v[52:53], s[8:9], v[54:55]
	;; [unrolled: 1-line block ×3, first 2 shown]
	v_mul_f64 v[147:148], v[50:51], s[40:41]
	v_fma_f64 v[52:53], v[52:53], s[8:9], -v[54:55]
	v_mul_f64 v[46:47], v[46:47], s[44:45]
	v_add_f64 v[42:43], v[133:134], v[42:43]
	v_fma_f64 v[54:55], v[66:67], s[20:21], -v[139:140]
	v_mul_f64 v[133:134], v[112:113], s[14:15]
	v_fma_f64 v[137:138], v[44:45], s[22:23], -v[137:138]
	v_add_f64 v[145:146], v[0:1], v[145:146]
	v_fma_f64 v[149:150], v[48:49], s[36:37], v[147:148]
	v_mul_f64 v[151:152], v[60:61], s[28:29]
	v_fma_f64 v[153:154], v[44:45], s[8:9], -v[46:47]
	v_fma_f64 v[44:45], v[44:45], s[8:9], v[46:47]
	v_add_f64 v[42:43], v[54:55], v[42:43]
	v_fma_f64 v[46:47], v[98:99], s[6:7], -v[133:134]
	v_mul_f64 v[54:55], v[108:109], s[52:53]
	v_mul_f64 v[155:156], v[110:111], s[14:15]
	v_add_f64 v[145:146], v[149:150], v[145:146]
	v_fma_f64 v[149:150], v[56:57], s[20:21], v[151:152]
	v_mul_f64 v[157:158], v[102:103], s[46:47]
	v_add_f64 v[135:136], v[2:3], v[135:136]
	v_add_f64 v[141:142], v[2:3], v[141:142]
	v_add_f64 v[42:43], v[46:47], v[42:43]
	v_fma_f64 v[46:47], v[96:97], s[16:17], -v[54:55]
	v_mul_f64 v[159:160], v[106:107], s[52:53]
	v_add_f64 v[2:3], v[2:3], v[52:53]
	v_add_f64 v[145:146], v[149:150], v[145:146]
	v_fma_f64 v[149:150], v[64:65], s[6:7], v[155:156]
	v_mul_f64 v[52:53], v[62:63], s[48:49]
	v_mul_f64 v[50:51], v[50:51], s[48:49]
	v_add_f64 v[137:138], v[0:1], v[137:138]
	v_add_f64 v[42:43], v[46:47], v[42:43]
	v_fma_f64 v[46:47], v[92:93], s[30:31], -v[157:158]
	v_add_f64 v[153:154], v[0:1], v[153:154]
	v_add_f64 v[0:1], v[0:1], v[44:45]
	;; [unrolled: 1-line block ×3, first 2 shown]
	v_fma_f64 v[62:63], v[94:95], s[16:17], v[159:160]
	v_mul_f64 v[145:146], v[104:105], s[46:47]
	v_fma_f64 v[149:150], v[58:59], s[22:23], -v[52:53]
	v_mul_f64 v[114:115], v[114:115], s[54:55]
	v_add_f64 v[42:43], v[46:47], v[42:43]
	v_fma_f64 v[46:47], v[48:49], s[22:23], v[50:51]
	v_mul_f64 v[60:61], v[60:61], s[54:55]
	v_mul_f64 v[112:113], v[112:113], s[40:41]
	v_add_f64 v[44:45], v[62:63], v[44:45]
	v_fma_f64 v[62:63], v[90:91], s[30:31], v[145:146]
	v_add_f64 v[2:3], v[149:150], v[2:3]
	v_fma_f64 v[149:150], v[66:67], s[26:27], -v[114:115]
	v_mul_f64 v[110:111], v[110:111], s[40:41]
	v_add_f64 v[0:1], v[46:47], v[0:1]
	v_fma_f64 v[46:47], v[56:57], s[26:27], v[60:61]
	v_mul_f64 v[108:109], v[108:109], s[38:39]
	v_mul_f64 v[106:107], v[106:107], s[38:39]
	v_add_f64 v[44:45], v[62:63], v[44:45]
	v_fma_f64 v[62:63], v[98:99], s[36:37], -v[112:113]
	v_add_f64 v[2:3], v[149:150], v[2:3]
	v_fma_f64 v[143:144], v[58:59], s[36:37], v[143:144]
	v_mul_f64 v[102:103], v[102:103], s[28:29]
	v_add_f64 v[0:1], v[46:47], v[0:1]
	v_fma_f64 v[46:47], v[64:65], s[36:37], v[110:111]
	v_fma_f64 v[139:140], v[66:67], s[20:21], v[139:140]
	v_mul_f64 v[161:162], v[100:101], s[34:35]
	v_mul_f64 v[100:101], v[100:101], s[24:25]
	v_add_f64 v[2:3], v[62:63], v[2:3]
	v_fma_f64 v[62:63], v[96:97], s[30:31], -v[108:109]
	v_add_f64 v[135:136], v[143:144], v[135:136]
	v_fma_f64 v[133:134], v[98:99], s[6:7], v[133:134]
	v_add_f64 v[0:1], v[46:47], v[0:1]
	v_fma_f64 v[46:47], v[94:95], s[30:31], v[106:107]
	v_fma_f64 v[52:53], v[58:59], s[22:23], v[52:53]
	v_fma_f64 v[58:59], v[56:57], s[20:21], -v[151:152]
	v_fma_f64 v[54:55], v[96:97], s[16:17], v[54:55]
	v_add_f64 v[2:3], v[62:63], v[2:3]
	v_fma_f64 v[62:63], v[92:93], s[20:21], -v[102:103]
	v_add_f64 v[135:136], v[139:140], v[135:136]
	v_fma_f64 v[66:67], v[66:67], s[26:27], v[114:115]
	v_add_f64 v[0:1], v[46:47], v[0:1]
	v_fma_f64 v[46:47], v[48:49], s[36:37], -v[147:148]
	v_fma_f64 v[48:49], v[48:49], s[22:23], -v[50:51]
	v_add_f64 v[52:53], v[52:53], v[141:142]
	v_fma_f64 v[56:57], v[56:57], s[26:27], -v[60:61]
	v_add_f64 v[2:3], v[62:63], v[2:3]
	;; [unrolled: 2-line block ×4, first 2 shown]
	v_add_f64 v[48:49], v[48:49], v[153:154]
	v_add_f64 v[52:53], v[66:67], v[52:53]
	v_fma_f64 v[64:65], v[64:65], s[36:37], -v[110:111]
	v_mul_f64 v[104:105], v[104:105], s[28:29]
	v_mul_f64 v[165:166], v[40:41], s[34:35]
	v_mul_f64 v[40:41], v[40:41], s[24:25]
	v_fma_f64 v[163:164], v[84:85], s[26:27], -v[161:162]
	v_add_f64 v[46:47], v[58:59], v[46:47]
	v_add_f64 v[58:59], v[62:63], v[2:3]
	;; [unrolled: 1-line block ×3, first 2 shown]
	v_fma_f64 v[54:55], v[98:99], s[36:37], v[112:113]
	v_add_f64 v[48:49], v[56:57], v[48:49]
	v_fma_f64 v[62:63], v[96:97], s[30:31], v[108:109]
	v_fma_f64 v[56:57], v[94:95], s[30:31], -v[106:107]
	v_fma_f64 v[143:144], v[90:91], s[20:21], v[104:105]
	v_add_f64 v[46:47], v[50:51], v[46:47]
	v_fma_f64 v[50:51], v[94:95], s[16:17], -v[159:160]
	v_fma_f64 v[94:95], v[90:91], s[30:31], -v[145:146]
	v_add_f64 v[52:53], v[54:55], v[52:53]
	v_fma_f64 v[54:55], v[92:93], s[30:31], v[157:158]
	v_add_f64 v[48:49], v[64:65], v[48:49]
	v_fma_f64 v[137:138], v[82:83], s[16:17], v[40:41]
	v_add_f64 v[0:1], v[143:144], v[0:1]
	v_mul_f64 v[60:61], v[86:87], s[18:19]
	v_add_f64 v[46:47], v[50:51], v[46:47]
	v_mul_f64 v[64:65], v[86:87], s[14:15]
	v_add_f64 v[52:53], v[62:63], v[52:53]
	v_add_f64 v[2:3], v[54:55], v[2:3]
	v_fma_f64 v[54:55], v[92:93], s[20:21], v[102:103]
	v_fma_f64 v[62:63], v[90:91], s[20:21], -v[104:105]
	v_add_f64 v[48:49], v[56:57], v[48:49]
	v_mul_f64 v[86:87], v[88:89], s[14:15]
	v_fma_f64 v[149:150], v[82:83], s[26:27], v[165:166]
	v_mul_f64 v[66:67], v[88:89], s[18:19]
	v_add_f64 v[46:47], v[94:95], v[46:47]
	v_fma_f64 v[56:57], v[84:85], s[26:27], v[161:162]
	v_fma_f64 v[88:89], v[82:83], s[26:27], -v[165:166]
	v_fma_f64 v[84:85], v[84:85], s[16:17], v[100:101]
	v_add_f64 v[52:53], v[54:55], v[52:53]
	v_fma_f64 v[40:41], v[82:83], s[16:17], -v[40:41]
	v_add_f64 v[48:49], v[62:63], v[48:49]
	v_add_f64 v[42:43], v[163:164], v[42:43]
	;; [unrolled: 1-line block ×3, first 2 shown]
	v_fma_f64 v[50:51], v[80:81], s[8:9], -v[60:61]
	v_fma_f64 v[90:91], v[80:81], s[6:7], -v[64:65]
	v_fma_f64 v[54:55], v[78:79], s[6:7], v[86:87]
	v_add_f64 v[44:45], v[149:150], v[44:45]
	v_fma_f64 v[96:97], v[78:79], s[8:9], v[66:67]
	v_add_f64 v[62:63], v[88:89], v[46:47]
	v_fma_f64 v[46:47], v[80:81], s[8:9], v[60:61]
	v_fma_f64 v[60:61], v[80:81], s[6:7], v[64:65]
	v_add_f64 v[52:53], v[84:85], v[52:53]
	v_add_f64 v[56:57], v[56:57], v[2:3]
	v_fma_f64 v[64:65], v[78:79], s[8:9], -v[66:67]
	v_fma_f64 v[66:67], v[78:79], s[6:7], -v[86:87]
	v_add_f64 v[48:49], v[40:41], v[48:49]
	v_add_f64 v[2:3], v[50:51], v[42:43]
	;; [unrolled: 1-line block ×6, first 2 shown]
	v_lshl_add_u32 v52, v70, 8, v116
	v_add_f64 v[46:47], v[46:47], v[56:57]
	v_add_f64 v[44:45], v[64:65], v[62:63]
	;; [unrolled: 1-line block ×3, first 2 shown]
	ds_write_b128 v52, v[4:7]
	ds_write_b128 v52, v[40:43] offset:16
	ds_write_b128 v52, v[0:3] offset:32
	;; [unrolled: 1-line block ×16, first 2 shown]
.LBB0_21:
	s_or_b64 exec, exec, s[4:5]
	s_movk_i32 s4, 0xf1
	v_mul_lo_u16_sdwa v0, v70, s4 dst_sel:DWORD dst_unused:UNUSED_PAD src0_sel:BYTE_0 src1_sel:DWORD
	v_lshrrev_b16_e32 v71, 12, v0
	v_mul_lo_u16_e32 v0, 17, v71
	v_sub_u16_e32 v106, v70, v0
	v_mov_b32_e32 v24, 5
	v_lshlrev_b32_sdwa v8, v24, v106 dst_sel:DWORD dst_unused:UNUSED_PAD src0_sel:DWORD src1_sel:BYTE_0
	s_waitcnt lgkmcnt(0)
	; wave barrier
	s_waitcnt lgkmcnt(0)
	global_load_dwordx4 v[0:3], v8, s[12:13] offset:16
	global_load_dwordx4 v[4:7], v8, s[12:13]
	v_add_u16_e32 v8, 51, v70
	v_mul_lo_u16_sdwa v9, v8, s4 dst_sel:DWORD dst_unused:UNUSED_PAD src0_sel:BYTE_0 src1_sel:DWORD
	v_lshrrev_b16_e32 v107, 12, v9
	v_mul_lo_u16_e32 v9, 17, v107
	v_sub_u16_e32 v108, v8, v9
	v_lshlrev_b32_sdwa v16, v24, v108 dst_sel:DWORD dst_unused:UNUSED_PAD src0_sel:DWORD src1_sel:BYTE_0
	global_load_dwordx4 v[8:11], v16, s[12:13] offset:16
	global_load_dwordx4 v[12:15], v16, s[12:13]
	v_add_u16_e32 v16, 0x66, v70
	v_mul_lo_u16_sdwa v17, v16, s4 dst_sel:DWORD dst_unused:UNUSED_PAD src0_sel:BYTE_0 src1_sel:DWORD
	v_lshrrev_b16_e32 v109, 12, v17
	v_mul_lo_u16_e32 v17, 17, v109
	v_sub_u16_e32 v110, v16, v17
	v_lshlrev_b32_sdwa v25, v24, v110 dst_sel:DWORD dst_unused:UNUSED_PAD src0_sel:DWORD src1_sel:BYTE_0
	;; [unrolled: 8-line block ×3, first 2 shown]
	global_load_dwordx4 v[24:27], v32, s[12:13]
	global_load_dwordx4 v[28:31], v32, s[12:13] offset:16
	ds_read_b128 v[32:35], v116
	ds_read_b128 v[36:39], v116 offset:816
	ds_read_b128 v[40:43], v116 offset:3264
	;; [unrolled: 1-line block ×11, first 2 shown]
	s_mov_b32 s4, 0xe8584caa
	s_mov_b32 s5, 0xbfebb67a
	;; [unrolled: 1-line block ×4, first 2 shown]
	s_waitcnt lgkmcnt(0)
	; wave barrier
	s_waitcnt vmcnt(7) lgkmcnt(0)
	v_mul_f64 v[92:93], v[50:51], v[2:3]
	s_waitcnt vmcnt(6)
	v_mul_f64 v[90:91], v[42:43], v[6:7]
	v_mul_f64 v[6:7], v[40:41], v[6:7]
	;; [unrolled: 1-line block ×3, first 2 shown]
	s_waitcnt vmcnt(5)
	v_mul_f64 v[96:97], v[54:55], v[10:11]
	s_waitcnt vmcnt(4)
	v_mul_f64 v[94:95], v[46:47], v[14:15]
	v_mul_f64 v[14:15], v[44:45], v[14:15]
	;; [unrolled: 1-line block ×3, first 2 shown]
	v_fma_f64 v[40:41], v[40:41], v[4:5], v[90:91]
	v_fma_f64 v[4:5], v[42:43], v[4:5], -v[6:7]
	v_fma_f64 v[6:7], v[48:49], v[0:1], v[92:93]
	s_waitcnt vmcnt(3)
	v_mul_f64 v[100:101], v[84:85], v[18:19]
	s_waitcnt vmcnt(2)
	v_mul_f64 v[98:99], v[66:67], v[22:23]
	v_mul_f64 v[22:23], v[64:65], v[22:23]
	v_mul_f64 v[18:19], v[82:83], v[18:19]
	v_fma_f64 v[2:3], v[50:51], v[0:1], -v[2:3]
	v_fma_f64 v[0:1], v[44:45], v[12:13], v[94:95]
	v_fma_f64 v[12:13], v[46:47], v[12:13], -v[14:15]
	v_fma_f64 v[14:15], v[52:53], v[8:9], v[96:97]
	s_waitcnt vmcnt(0)
	v_mul_f64 v[104:105], v[88:89], v[30:31]
	v_mul_f64 v[30:31], v[86:87], v[30:31]
	;; [unrolled: 1-line block ×4, first 2 shown]
	v_fma_f64 v[8:9], v[54:55], v[8:9], -v[10:11]
	v_fma_f64 v[10:11], v[64:65], v[20:21], v[98:99]
	v_fma_f64 v[42:43], v[66:67], v[20:21], -v[22:23]
	v_fma_f64 v[44:45], v[82:83], v[16:17], v[100:101]
	;; [unrolled: 2-line block ×3, first 2 shown]
	v_fma_f64 v[54:55], v[88:89], v[28:29], -v[30:31]
	v_add_f64 v[16:17], v[32:33], v[40:41]
	v_add_f64 v[18:19], v[40:41], v[6:7]
	v_add_f64 v[20:21], v[4:5], -v[2:3]
	v_add_f64 v[22:23], v[34:35], v[4:5]
	v_add_f64 v[4:5], v[4:5], v[2:3]
	;; [unrolled: 1-line block ×3, first 2 shown]
	v_fma_f64 v[48:49], v[78:79], v[24:25], v[102:103]
	v_fma_f64 v[50:51], v[80:81], v[24:25], -v[26:27]
	v_add_f64 v[24:25], v[40:41], -v[6:7]
	v_add_f64 v[26:27], v[36:37], v[0:1]
	v_add_f64 v[30:31], v[12:13], -v[8:9]
	v_add_f64 v[40:41], v[38:39], v[12:13]
	v_add_f64 v[12:13], v[12:13], v[8:9]
	v_add_f64 v[64:65], v[0:1], -v[14:15]
	v_add_f64 v[0:1], v[16:17], v[6:7]
	v_fma_f64 v[16:17], v[18:19], -0.5, v[32:33]
	v_add_f64 v[2:3], v[22:23], v[2:3]
	v_fma_f64 v[18:19], v[4:5], -0.5, v[34:35]
	v_fma_f64 v[22:23], v[28:29], -0.5, v[36:37]
	v_add_f64 v[66:67], v[56:57], v[10:11]
	v_add_f64 v[78:79], v[10:11], v[44:45]
	;; [unrolled: 1-line block ×5, first 2 shown]
	v_fma_f64 v[26:27], v[12:13], -0.5, v[38:39]
	v_fma_f64 v[12:13], v[20:21], s[4:5], v[16:17]
	v_fma_f64 v[16:17], v[20:21], s[6:7], v[16:17]
	;; [unrolled: 1-line block ×6, first 2 shown]
	v_add_f64 v[30:31], v[50:51], v[54:55]
	v_add_f64 v[34:35], v[58:59], v[42:43]
	v_add_f64 v[80:81], v[42:43], -v[46:47]
	v_add_f64 v[6:7], v[40:41], v[8:9]
	v_add_f64 v[8:9], v[66:67], v[44:45]
	v_fma_f64 v[32:33], v[78:79], -0.5, v[56:57]
	v_fma_f64 v[36:37], v[82:83], -0.5, v[58:59]
	v_add_f64 v[38:39], v[10:11], -v[44:45]
	v_add_f64 v[40:41], v[60:61], v[48:49]
	v_fma_f64 v[42:43], v[84:85], -0.5, v[60:61]
	v_add_f64 v[44:45], v[50:51], -v[54:55]
	v_fma_f64 v[56:57], v[30:31], -0.5, v[62:63]
	v_add_f64 v[48:49], v[48:49], -v[52:53]
	v_add_f64 v[50:51], v[62:63], v[50:51]
	v_fma_f64 v[22:23], v[64:65], s[6:7], v[26:27]
	v_fma_f64 v[26:27], v[64:65], s[4:5], v[26:27]
	v_add_f64 v[10:11], v[34:35], v[46:47]
	v_fma_f64 v[28:29], v[80:81], s[4:5], v[32:33]
	v_fma_f64 v[30:31], v[38:39], s[6:7], v[36:37]
	;; [unrolled: 1-line block ×3, first 2 shown]
	v_add_f64 v[36:37], v[40:41], v[52:53]
	v_fma_f64 v[40:41], v[44:45], s[4:5], v[42:43]
	v_fma_f64 v[44:45], v[44:45], s[6:7], v[42:43]
	v_fma_f64 v[42:43], v[48:49], s[6:7], v[56:57]
	v_fma_f64 v[46:47], v[48:49], s[4:5], v[56:57]
	v_mov_b32_e32 v49, 4
	v_fma_f64 v[32:33], v[80:81], s[6:7], v[32:33]
	v_add_f64 v[38:39], v[50:51], v[54:55]
	v_mul_u32_u24_e32 v48, 0x330, v71
	v_lshlrev_b32_sdwa v50, v49, v106 dst_sel:DWORD dst_unused:UNUSED_PAD src0_sel:DWORD src1_sel:BYTE_0
	v_add3_u32 v48, 0, v48, v50
	ds_write_b128 v48, v[0:3]
	ds_write_b128 v48, v[12:15] offset:272
	ds_write_b128 v48, v[16:19] offset:544
	v_mul_u32_u24_e32 v0, 0x330, v107
	v_lshlrev_b32_sdwa v1, v49, v108 dst_sel:DWORD dst_unused:UNUSED_PAD src0_sel:DWORD src1_sel:BYTE_0
	v_add3_u32 v0, 0, v0, v1
	ds_write_b128 v0, v[4:7]
	ds_write_b128 v0, v[20:23] offset:272
	ds_write_b128 v0, v[24:27] offset:544
	;; [unrolled: 6-line block ×4, first 2 shown]
	v_mul_u32_u24_e32 v0, 5, v70
	v_lshlrev_b32_e32 v20, 4, v0
	s_waitcnt lgkmcnt(0)
	; wave barrier
	s_waitcnt lgkmcnt(0)
	global_load_dwordx4 v[0:3], v20, s[12:13] offset:544
	global_load_dwordx4 v[4:7], v20, s[12:13] offset:560
	;; [unrolled: 1-line block ×5, first 2 shown]
	ds_read_b128 v[20:23], v116
	ds_read_b128 v[24:27], v116 offset:816
	ds_read_b128 v[28:31], v116 offset:1632
	;; [unrolled: 1-line block ×11, first 2 shown]
	s_waitcnt lgkmcnt(0)
	; wave barrier
	s_waitcnt vmcnt(4) lgkmcnt(0)
	v_mul_f64 v[78:79], v[30:31], v[2:3]
	s_waitcnt vmcnt(3)
	v_mul_f64 v[82:83], v[38:39], v[6:7]
	s_waitcnt vmcnt(2)
	;; [unrolled: 2-line block ×4, first 2 shown]
	v_mul_f64 v[96:97], v[60:61], v[18:19]
	v_mul_f64 v[80:81], v[28:29], v[2:3]
	;; [unrolled: 1-line block ×8, first 2 shown]
	v_fma_f64 v[36:37], v[36:37], v[4:5], v[82:83]
	v_fma_f64 v[46:47], v[46:47], v[8:9], -v[88:89]
	v_fma_f64 v[52:53], v[52:53], v[12:13], v[90:91]
	v_fma_f64 v[62:63], v[62:63], v[16:17], -v[96:97]
	v_mul_f64 v[100:101], v[42:43], v[6:7]
	v_mul_f64 v[6:7], v[40:41], v[6:7]
	;; [unrolled: 1-line block ×4, first 2 shown]
	v_fma_f64 v[28:29], v[28:29], v[0:1], v[78:79]
	v_fma_f64 v[30:31], v[30:31], v[0:1], -v[80:81]
	v_fma_f64 v[38:39], v[38:39], v[4:5], -v[84:85]
	v_fma_f64 v[44:45], v[44:45], v[8:9], v[86:87]
	v_fma_f64 v[54:55], v[54:55], v[12:13], -v[92:93]
	v_fma_f64 v[60:61], v[60:61], v[16:17], v[94:95]
	v_fma_f64 v[32:33], v[32:33], v[0:1], v[98:99]
	v_fma_f64 v[34:35], v[34:35], v[0:1], -v[2:3]
	v_add_f64 v[0:1], v[36:37], v[52:53]
	v_add_f64 v[2:3], v[46:47], v[62:63]
	v_mul_f64 v[104:105], v[58:59], v[14:15]
	v_mul_f64 v[14:15], v[56:57], v[14:15]
	v_fma_f64 v[40:41], v[40:41], v[4:5], v[100:101]
	v_fma_f64 v[42:43], v[42:43], v[4:5], -v[6:7]
	v_fma_f64 v[48:49], v[48:49], v[8:9], v[102:103]
	v_fma_f64 v[50:51], v[50:51], v[8:9], -v[10:11]
	v_add_f64 v[4:5], v[20:21], v[36:37]
	v_add_f64 v[6:7], v[38:39], -v[54:55]
	v_add_f64 v[8:9], v[44:45], v[60:61]
	v_fma_f64 v[0:1], v[0:1], -0.5, v[20:21]
	v_add_f64 v[10:11], v[44:45], -v[60:61]
	v_fma_f64 v[2:3], v[2:3], -0.5, v[30:31]
	v_mul_f64 v[106:107], v[66:67], v[18:19]
	v_mul_f64 v[18:19], v[64:65], v[18:19]
	v_fma_f64 v[56:57], v[56:57], v[12:13], v[104:105]
	v_fma_f64 v[58:59], v[58:59], v[12:13], -v[14:15]
	v_add_f64 v[12:13], v[38:39], v[54:55]
	v_add_f64 v[14:15], v[46:47], -v[62:63]
	v_add_f64 v[20:21], v[4:5], v[52:53]
	v_fma_f64 v[4:5], v[8:9], -0.5, v[28:29]
	v_fma_f64 v[78:79], v[6:7], s[4:5], v[0:1]
	v_fma_f64 v[80:81], v[6:7], s[6:7], v[0:1]
	;; [unrolled: 1-line block ×4, first 2 shown]
	v_add_f64 v[6:7], v[22:23], v[38:39]
	v_fma_f64 v[8:9], v[12:13], -0.5, v[22:23]
	v_add_f64 v[12:13], v[28:29], v[44:45]
	v_fma_f64 v[22:23], v[14:15], s[4:5], v[4:5]
	v_fma_f64 v[4:5], v[14:15], s[6:7], v[4:5]
	v_add_f64 v[30:31], v[30:31], v[46:47]
	v_mul_f64 v[14:15], v[0:1], s[4:5]
	v_mul_f64 v[28:29], v[2:3], s[4:5]
	v_fma_f64 v[18:19], v[66:67], v[16:17], -v[18:19]
	v_fma_f64 v[64:65], v[64:65], v[16:17], v[106:107]
	v_add_f64 v[10:11], v[36:37], -v[52:53]
	v_add_f64 v[36:37], v[6:7], v[54:55]
	v_mul_f64 v[0:1], v[0:1], 0.5
	v_mul_f64 v[2:3], v[2:3], -0.5
	v_add_f64 v[12:13], v[12:13], v[60:61]
	v_fma_f64 v[14:15], v[22:23], 0.5, v[14:15]
	v_fma_f64 v[28:29], v[4:5], -0.5, v[28:29]
	v_add_f64 v[30:31], v[30:31], v[62:63]
	v_add_f64 v[52:53], v[40:41], v[56:57]
	;; [unrolled: 1-line block ×3, first 2 shown]
	v_fma_f64 v[38:39], v[10:11], s[6:7], v[8:9]
	v_fma_f64 v[44:45], v[10:11], s[4:5], v[8:9]
	;; [unrolled: 1-line block ×4, first 2 shown]
	v_add_f64 v[0:1], v[20:21], v[12:13]
	v_add_f64 v[4:5], v[78:79], v[14:15]
	;; [unrolled: 1-line block ×4, first 2 shown]
	v_add_f64 v[12:13], v[20:21], -v[12:13]
	v_add_f64 v[16:17], v[78:79], -v[14:15]
	v_add_f64 v[60:61], v[24:25], v[40:41]
	v_add_f64 v[20:21], v[80:81], -v[28:29]
	v_fma_f64 v[24:25], v[52:53], -0.5, v[24:25]
	v_add_f64 v[28:29], v[42:43], -v[58:59]
	v_add_f64 v[52:53], v[48:49], v[64:65]
	v_add_f64 v[14:15], v[36:37], -v[30:31]
	v_fma_f64 v[30:31], v[54:55], -0.5, v[34:35]
	v_add_f64 v[36:37], v[48:49], -v[64:65]
	v_add_f64 v[54:55], v[60:61], v[56:57]
	v_add_f64 v[60:61], v[26:27], v[42:43]
	;; [unrolled: 1-line block ×3, first 2 shown]
	v_fma_f64 v[62:63], v[28:29], s[4:5], v[24:25]
	v_fma_f64 v[52:53], v[52:53], -0.5, v[32:33]
	v_add_f64 v[66:67], v[50:51], -v[18:19]
	v_fma_f64 v[78:79], v[28:29], s[6:7], v[24:25]
	v_fma_f64 v[24:25], v[36:37], s[6:7], v[30:31]
	;; [unrolled: 1-line block ×3, first 2 shown]
	v_add_f64 v[32:33], v[32:33], v[48:49]
	v_add_f64 v[34:35], v[34:35], v[50:51]
	v_fma_f64 v[26:27], v[42:43], -0.5, v[26:27]
	v_add_f64 v[30:31], v[40:41], -v[56:57]
	v_fma_f64 v[36:37], v[66:67], s[4:5], v[52:53]
	v_fma_f64 v[40:41], v[66:67], s[6:7], v[52:53]
	v_mul_f64 v[42:43], v[24:25], s[4:5]
	v_mul_f64 v[24:25], v[24:25], 0.5
	v_mul_f64 v[48:49], v[28:29], s[4:5]
	v_mul_f64 v[28:29], v[28:29], -0.5
	v_add_f64 v[58:59], v[60:61], v[58:59]
	v_add_f64 v[56:57], v[32:33], v[64:65]
	;; [unrolled: 1-line block ×3, first 2 shown]
	v_fma_f64 v[50:51], v[30:31], s[6:7], v[26:27]
	v_fma_f64 v[42:43], v[36:37], 0.5, v[42:43]
	v_fma_f64 v[64:65], v[36:37], s[6:7], v[24:25]
	v_fma_f64 v[52:53], v[30:31], s[4:5], v[26:27]
	v_fma_f64 v[48:49], v[40:41], -0.5, v[48:49]
	v_fma_f64 v[66:67], v[40:41], s[6:7], v[28:29]
	v_add_f64 v[6:7], v[38:39], v[22:23]
	v_add_f64 v[10:11], v[44:45], v[46:47]
	v_add_f64 v[18:19], v[38:39], -v[22:23]
	v_add_f64 v[22:23], v[44:45], -v[46:47]
	v_add_f64 v[24:25], v[54:55], v[56:57]
	v_add_f64 v[26:27], v[58:59], v[60:61]
	;; [unrolled: 1-line block ×6, first 2 shown]
	v_add_f64 v[36:37], v[54:55], -v[56:57]
	v_add_f64 v[40:41], v[62:63], -v[42:43]
	;; [unrolled: 1-line block ×6, first 2 shown]
	ds_write_b128 v116, v[0:3]
	ds_write_b128 v116, v[4:7] offset:816
	ds_write_b128 v116, v[8:11] offset:1632
	;; [unrolled: 1-line block ×11, first 2 shown]
	v_mov_b32_e32 v4, s13
	v_add_co_u32_e32 v0, vcc, s12, v74
	v_addc_co_u32_e32 v1, vcc, v4, v75, vcc
	s_movk_i32 s4, 0x1000
	v_add_co_u32_e32 v0, vcc, s4, v0
	v_addc_co_u32_e32 v1, vcc, 0, v1, vcc
	v_add_co_u32_e32 v22, vcc, s12, v76
	v_addc_co_u32_e32 v23, vcc, v4, v77, vcc
	v_add_co_u32_e32 v20, vcc, s4, v22
	s_waitcnt lgkmcnt(0)
	; wave barrier
	s_waitcnt lgkmcnt(0)
	global_load_dwordx4 v[0:3], v[0:1], off offset:528
	v_addc_co_u32_e32 v21, vcc, 0, v23, vcc
	global_load_dwordx4 v[4:7], v[20:21], off offset:1344
	global_load_dwordx4 v[8:11], v[20:21], off offset:2160
	;; [unrolled: 1-line block ×4, first 2 shown]
	s_movk_i32 s4, 0x2000
	v_add_co_u32_e32 v20, vcc, s4, v22
	v_addc_co_u32_e32 v21, vcc, 0, v23, vcc
	global_load_dwordx4 v[20:23], v[20:21], off offset:512
	ds_read_b128 v[24:27], v116
	ds_read_b128 v[28:31], v116 offset:816
	ds_read_b128 v[32:35], v116 offset:4896
	;; [unrolled: 1-line block ×11, first 2 shown]
	s_waitcnt lgkmcnt(0)
	; wave barrier
	s_waitcnt vmcnt(5) lgkmcnt(0)
	v_mul_f64 v[78:79], v[34:35], v[2:3]
	v_mul_f64 v[2:3], v[32:33], v[2:3]
	s_waitcnt vmcnt(4)
	v_mul_f64 v[80:81], v[38:39], v[6:7]
	v_mul_f64 v[6:7], v[36:37], v[6:7]
	s_waitcnt vmcnt(3)
	;; [unrolled: 3-line block ×3, first 2 shown]
	v_mul_f64 v[84:85], v[54:55], v[14:15]
	v_mul_f64 v[14:15], v[52:53], v[14:15]
	v_fma_f64 v[32:33], v[32:33], v[0:1], v[78:79]
	v_fma_f64 v[2:3], v[34:35], v[0:1], -v[2:3]
	v_fma_f64 v[34:35], v[36:37], v[4:5], v[80:81]
	v_fma_f64 v[6:7], v[38:39], v[4:5], -v[6:7]
	;; [unrolled: 2-line block ×4, first 2 shown]
	s_waitcnt vmcnt(1)
	v_mul_f64 v[8:9], v[66:67], v[18:19]
	v_mul_f64 v[10:11], v[64:65], v[18:19]
	s_waitcnt vmcnt(0)
	v_mul_f64 v[12:13], v[76:77], v[22:23]
	v_mul_f64 v[14:15], v[74:75], v[22:23]
	v_add_f64 v[0:1], v[24:25], -v[32:33]
	v_add_f64 v[2:3], v[26:27], -v[2:3]
	;; [unrolled: 1-line block ×4, first 2 shown]
	v_fma_f64 v[32:33], v[64:65], v[16:17], v[8:9]
	v_fma_f64 v[34:35], v[66:67], v[16:17], -v[10:11]
	v_fma_f64 v[52:53], v[74:75], v[20:21], v[12:13]
	v_fma_f64 v[54:55], v[76:77], v[20:21], -v[14:15]
	v_add_f64 v[16:17], v[40:41], -v[36:37]
	v_add_f64 v[18:19], v[42:43], -v[38:39]
	v_add_f64 v[20:21], v[44:45], -v[48:49]
	v_add_f64 v[22:23], v[46:47], -v[50:51]
	v_fma_f64 v[8:9], v[24:25], 2.0, -v[0:1]
	v_fma_f64 v[10:11], v[26:27], 2.0, -v[2:3]
	;; [unrolled: 1-line block ×4, first 2 shown]
	v_add_f64 v[24:25], v[56:57], -v[32:33]
	v_add_f64 v[26:27], v[58:59], -v[34:35]
	;; [unrolled: 1-line block ×4, first 2 shown]
	v_fma_f64 v[32:33], v[40:41], 2.0, -v[16:17]
	v_fma_f64 v[34:35], v[42:43], 2.0, -v[18:19]
	;; [unrolled: 1-line block ×8, first 2 shown]
	ds_write_b128 v116, v[8:11]
	ds_write_b128 v116, v[0:3] offset:4896
	ds_write_b128 v116, v[12:15] offset:816
	ds_write_b128 v116, v[4:7] offset:5712
	ds_write_b128 v116, v[32:35] offset:1632
	ds_write_b128 v116, v[16:19] offset:6528
	ds_write_b128 v116, v[36:39] offset:2448
	ds_write_b128 v116, v[20:23] offset:7344
	ds_write_b128 v116, v[40:43] offset:3264
	ds_write_b128 v116, v[24:27] offset:8160
	ds_write_b128 v116, v[44:47] offset:4080
	ds_write_b128 v116, v[28:31] offset:8976
	s_waitcnt lgkmcnt(0)
	; wave barrier
	s_waitcnt lgkmcnt(0)
	s_and_saveexec_b64 s[4:5], s[0:1]
	s_cbranch_execz .LBB0_23
; %bb.22:
	v_mul_lo_u32 v0, s3, v72
	v_mul_lo_u32 v1, s2, v73
	v_mad_u64_u32 v[4:5], s[0:1], s2, v72, 0
	v_mov_b32_e32 v6, s11
	v_lshl_add_u32 v10, v70, 4, 0
	v_add3_u32 v5, v5, v1, v0
	v_lshlrev_b64 v[4:5], 4, v[4:5]
	v_mov_b32_e32 v71, 0
	v_add_co_u32_e32 v7, vcc, s10, v4
	v_addc_co_u32_e32 v6, vcc, v6, v5, vcc
	v_lshlrev_b64 v[4:5], 4, v[68:69]
	ds_read_b128 v[0:3], v10
	v_add_co_u32_e32 v11, vcc, v7, v4
	v_addc_co_u32_e32 v12, vcc, v6, v5, vcc
	v_lshlrev_b64 v[4:5], 4, v[70:71]
	v_add_co_u32_e32 v8, vcc, v11, v4
	v_addc_co_u32_e32 v9, vcc, v12, v5, vcc
	ds_read_b128 v[4:7], v10 offset:816
	s_waitcnt lgkmcnt(1)
	global_store_dwordx4 v[8:9], v[0:3], off
	s_nop 0
	v_add_u32_e32 v0, 51, v70
	v_mov_b32_e32 v1, v71
	v_lshlrev_b64 v[0:1], 4, v[0:1]
	v_add_co_u32_e32 v0, vcc, v11, v0
	v_addc_co_u32_e32 v1, vcc, v12, v1, vcc
	s_waitcnt lgkmcnt(0)
	global_store_dwordx4 v[0:1], v[4:7], off
	ds_read_b128 v[0:3], v10 offset:1632
	v_add_u32_e32 v4, 0x66, v70
	v_mov_b32_e32 v5, v71
	v_lshlrev_b64 v[4:5], 4, v[4:5]
	v_add_co_u32_e32 v8, vcc, v11, v4
	v_addc_co_u32_e32 v9, vcc, v12, v5, vcc
	ds_read_b128 v[4:7], v10 offset:2448
	s_waitcnt lgkmcnt(1)
	global_store_dwordx4 v[8:9], v[0:3], off
	s_nop 0
	v_add_u32_e32 v0, 0x99, v70
	v_mov_b32_e32 v1, v71
	v_lshlrev_b64 v[0:1], 4, v[0:1]
	v_add_co_u32_e32 v0, vcc, v11, v0
	v_addc_co_u32_e32 v1, vcc, v12, v1, vcc
	s_waitcnt lgkmcnt(0)
	global_store_dwordx4 v[0:1], v[4:7], off
	ds_read_b128 v[0:3], v10 offset:3264
	v_add_u32_e32 v4, 0xcc, v70
	v_mov_b32_e32 v5, v71
	;; [unrolled: 17-line block ×5, first 2 shown]
	v_lshlrev_b64 v[4:5], 4, v[4:5]
	v_add_u32_e32 v70, 0x231, v70
	v_add_co_u32_e32 v8, vcc, v11, v4
	v_addc_co_u32_e32 v9, vcc, v12, v5, vcc
	ds_read_b128 v[4:7], v10 offset:8976
	s_waitcnt lgkmcnt(1)
	global_store_dwordx4 v[8:9], v[0:3], off
	s_nop 0
	v_lshlrev_b64 v[0:1], 4, v[70:71]
	v_add_co_u32_e32 v0, vcc, v11, v0
	v_addc_co_u32_e32 v1, vcc, v12, v1, vcc
	s_waitcnt lgkmcnt(0)
	global_store_dwordx4 v[0:1], v[4:7], off
.LBB0_23:
	s_endpgm
	.section	.rodata,"a",@progbits
	.p2align	6, 0x0
	.amdhsa_kernel fft_rtc_back_len612_factors_17_3_6_2_wgs_51_tpt_51_halfLds_dp_op_CI_CI_unitstride_sbrr_C2R_dirReg
		.amdhsa_group_segment_fixed_size 0
		.amdhsa_private_segment_fixed_size 0
		.amdhsa_kernarg_size 104
		.amdhsa_user_sgpr_count 6
		.amdhsa_user_sgpr_private_segment_buffer 1
		.amdhsa_user_sgpr_dispatch_ptr 0
		.amdhsa_user_sgpr_queue_ptr 0
		.amdhsa_user_sgpr_kernarg_segment_ptr 1
		.amdhsa_user_sgpr_dispatch_id 0
		.amdhsa_user_sgpr_flat_scratch_init 0
		.amdhsa_user_sgpr_private_segment_size 0
		.amdhsa_uses_dynamic_stack 0
		.amdhsa_system_sgpr_private_segment_wavefront_offset 0
		.amdhsa_system_sgpr_workgroup_id_x 1
		.amdhsa_system_sgpr_workgroup_id_y 0
		.amdhsa_system_sgpr_workgroup_id_z 0
		.amdhsa_system_sgpr_workgroup_info 0
		.amdhsa_system_vgpr_workitem_id 0
		.amdhsa_next_free_vgpr 167
		.amdhsa_next_free_sgpr 58
		.amdhsa_reserve_vcc 1
		.amdhsa_reserve_flat_scratch 0
		.amdhsa_float_round_mode_32 0
		.amdhsa_float_round_mode_16_64 0
		.amdhsa_float_denorm_mode_32 3
		.amdhsa_float_denorm_mode_16_64 3
		.amdhsa_dx10_clamp 1
		.amdhsa_ieee_mode 1
		.amdhsa_fp16_overflow 0
		.amdhsa_exception_fp_ieee_invalid_op 0
		.amdhsa_exception_fp_denorm_src 0
		.amdhsa_exception_fp_ieee_div_zero 0
		.amdhsa_exception_fp_ieee_overflow 0
		.amdhsa_exception_fp_ieee_underflow 0
		.amdhsa_exception_fp_ieee_inexact 0
		.amdhsa_exception_int_div_zero 0
	.end_amdhsa_kernel
	.text
.Lfunc_end0:
	.size	fft_rtc_back_len612_factors_17_3_6_2_wgs_51_tpt_51_halfLds_dp_op_CI_CI_unitstride_sbrr_C2R_dirReg, .Lfunc_end0-fft_rtc_back_len612_factors_17_3_6_2_wgs_51_tpt_51_halfLds_dp_op_CI_CI_unitstride_sbrr_C2R_dirReg
                                        ; -- End function
	.section	.AMDGPU.csdata,"",@progbits
; Kernel info:
; codeLenInByte = 13020
; NumSgprs: 62
; NumVgprs: 167
; ScratchSize: 0
; MemoryBound: 0
; FloatMode: 240
; IeeeMode: 1
; LDSByteSize: 0 bytes/workgroup (compile time only)
; SGPRBlocks: 7
; VGPRBlocks: 41
; NumSGPRsForWavesPerEU: 62
; NumVGPRsForWavesPerEU: 167
; Occupancy: 1
; WaveLimiterHint : 1
; COMPUTE_PGM_RSRC2:SCRATCH_EN: 0
; COMPUTE_PGM_RSRC2:USER_SGPR: 6
; COMPUTE_PGM_RSRC2:TRAP_HANDLER: 0
; COMPUTE_PGM_RSRC2:TGID_X_EN: 1
; COMPUTE_PGM_RSRC2:TGID_Y_EN: 0
; COMPUTE_PGM_RSRC2:TGID_Z_EN: 0
; COMPUTE_PGM_RSRC2:TIDIG_COMP_CNT: 0
	.type	__hip_cuid_f34aa5c2115df6c4,@object ; @__hip_cuid_f34aa5c2115df6c4
	.section	.bss,"aw",@nobits
	.globl	__hip_cuid_f34aa5c2115df6c4
__hip_cuid_f34aa5c2115df6c4:
	.byte	0                               ; 0x0
	.size	__hip_cuid_f34aa5c2115df6c4, 1

	.ident	"AMD clang version 19.0.0git (https://github.com/RadeonOpenCompute/llvm-project roc-6.4.0 25133 c7fe45cf4b819c5991fe208aaa96edf142730f1d)"
	.section	".note.GNU-stack","",@progbits
	.addrsig
	.addrsig_sym __hip_cuid_f34aa5c2115df6c4
	.amdgpu_metadata
---
amdhsa.kernels:
  - .args:
      - .actual_access:  read_only
        .address_space:  global
        .offset:         0
        .size:           8
        .value_kind:     global_buffer
      - .offset:         8
        .size:           8
        .value_kind:     by_value
      - .actual_access:  read_only
        .address_space:  global
        .offset:         16
        .size:           8
        .value_kind:     global_buffer
      - .actual_access:  read_only
        .address_space:  global
        .offset:         24
        .size:           8
        .value_kind:     global_buffer
      - .actual_access:  read_only
        .address_space:  global
        .offset:         32
        .size:           8
        .value_kind:     global_buffer
      - .offset:         40
        .size:           8
        .value_kind:     by_value
      - .actual_access:  read_only
        .address_space:  global
        .offset:         48
        .size:           8
        .value_kind:     global_buffer
      - .actual_access:  read_only
        .address_space:  global
        .offset:         56
        .size:           8
        .value_kind:     global_buffer
      - .offset:         64
        .size:           4
        .value_kind:     by_value
      - .actual_access:  read_only
        .address_space:  global
        .offset:         72
        .size:           8
        .value_kind:     global_buffer
      - .actual_access:  read_only
        .address_space:  global
        .offset:         80
        .size:           8
        .value_kind:     global_buffer
      - .actual_access:  read_only
        .address_space:  global
        .offset:         88
        .size:           8
        .value_kind:     global_buffer
      - .actual_access:  write_only
        .address_space:  global
        .offset:         96
        .size:           8
        .value_kind:     global_buffer
    .group_segment_fixed_size: 0
    .kernarg_segment_align: 8
    .kernarg_segment_size: 104
    .language:       OpenCL C
    .language_version:
      - 2
      - 0
    .max_flat_workgroup_size: 51
    .name:           fft_rtc_back_len612_factors_17_3_6_2_wgs_51_tpt_51_halfLds_dp_op_CI_CI_unitstride_sbrr_C2R_dirReg
    .private_segment_fixed_size: 0
    .sgpr_count:     62
    .sgpr_spill_count: 0
    .symbol:         fft_rtc_back_len612_factors_17_3_6_2_wgs_51_tpt_51_halfLds_dp_op_CI_CI_unitstride_sbrr_C2R_dirReg.kd
    .uniform_work_group_size: 1
    .uses_dynamic_stack: false
    .vgpr_count:     167
    .vgpr_spill_count: 0
    .wavefront_size: 64
amdhsa.target:   amdgcn-amd-amdhsa--gfx906
amdhsa.version:
  - 1
  - 2
...

	.end_amdgpu_metadata
